;; amdgpu-corpus repo=ROCm/rocFFT kind=compiled arch=gfx950 opt=O3
	.text
	.amdgcn_target "amdgcn-amd-amdhsa--gfx950"
	.amdhsa_code_object_version 6
	.protected	fft_rtc_fwd_len182_factors_13_2_7_wgs_52_tpt_13_sp_ip_CI_unitstride_sbrr_C2R_dirReg ; -- Begin function fft_rtc_fwd_len182_factors_13_2_7_wgs_52_tpt_13_sp_ip_CI_unitstride_sbrr_C2R_dirReg
	.globl	fft_rtc_fwd_len182_factors_13_2_7_wgs_52_tpt_13_sp_ip_CI_unitstride_sbrr_C2R_dirReg
	.p2align	8
	.type	fft_rtc_fwd_len182_factors_13_2_7_wgs_52_tpt_13_sp_ip_CI_unitstride_sbrr_C2R_dirReg,@function
fft_rtc_fwd_len182_factors_13_2_7_wgs_52_tpt_13_sp_ip_CI_unitstride_sbrr_C2R_dirReg: ; @fft_rtc_fwd_len182_factors_13_2_7_wgs_52_tpt_13_sp_ip_CI_unitstride_sbrr_C2R_dirReg
; %bb.0:
	s_load_dwordx2 s[8:9], s[0:1], 0x50
	s_load_dwordx4 s[4:7], s[0:1], 0x0
	s_load_dwordx2 s[10:11], s[0:1], 0x18
	v_mul_u32_u24_e32 v1, 0x13b2, v0
	v_lshrrev_b32_e32 v1, 16, v1
	v_lshl_add_u32 v6, s2, 2, v1
	v_mov_b32_e32 v4, 0
	s_waitcnt lgkmcnt(0)
	v_cmp_lt_u64_e64 s[2:3], s[6:7], 2
	v_mov_b32_e32 v7, v4
	s_and_b64 vcc, exec, s[2:3]
	v_mov_b64_e32 v[2:3], 0
	s_cbranch_vccnz .LBB0_8
; %bb.1:
	s_load_dwordx2 s[2:3], s[0:1], 0x10
	s_add_u32 s12, s10, 8
	s_addc_u32 s13, s11, 0
	s_mov_b64 s[14:15], 1
	v_mov_b64_e32 v[2:3], 0
	s_waitcnt lgkmcnt(0)
	s_add_u32 s16, s2, 8
	s_addc_u32 s17, s3, 0
.LBB0_2:                                ; =>This Inner Loop Header: Depth=1
	s_load_dwordx2 s[18:19], s[16:17], 0x0
                                        ; implicit-def: $vgpr8_vgpr9
	s_waitcnt lgkmcnt(0)
	v_or_b32_e32 v5, s19, v7
	v_cmp_ne_u64_e32 vcc, 0, v[4:5]
	s_and_saveexec_b64 s[2:3], vcc
	s_xor_b64 s[20:21], exec, s[2:3]
	s_cbranch_execz .LBB0_4
; %bb.3:                                ;   in Loop: Header=BB0_2 Depth=1
	v_cvt_f32_u32_e32 v5, s18
	v_cvt_f32_u32_e32 v8, s19
	s_sub_u32 s2, 0, s18
	s_subb_u32 s3, 0, s19
	v_fmac_f32_e32 v5, 0x4f800000, v8
	v_rcp_f32_e32 v5, v5
	s_nop 0
	v_mul_f32_e32 v5, 0x5f7ffffc, v5
	v_mul_f32_e32 v8, 0x2f800000, v5
	v_trunc_f32_e32 v8, v8
	v_fmac_f32_e32 v5, 0xcf800000, v8
	v_cvt_u32_f32_e32 v12, v8
	v_cvt_u32_f32_e32 v5, v5
	v_mul_lo_u32 v8, s2, v12
	v_mul_hi_u32 v10, s2, v5
	v_mul_lo_u32 v9, s3, v5
	v_add_u32_e32 v10, v10, v8
	v_mul_lo_u32 v13, s2, v5
	v_add_u32_e32 v14, v10, v9
	v_mul_hi_u32 v8, v5, v13
	v_mul_hi_u32 v11, v5, v14
	v_mul_lo_u32 v10, v5, v14
	v_mov_b32_e32 v9, v4
	v_lshl_add_u64 v[8:9], v[8:9], 0, v[10:11]
	v_mul_hi_u32 v11, v12, v13
	v_mul_lo_u32 v13, v12, v13
	v_add_co_u32_e32 v8, vcc, v8, v13
	v_mul_hi_u32 v10, v12, v14
	s_nop 0
	v_addc_co_u32_e32 v8, vcc, v9, v11, vcc
	v_mov_b32_e32 v9, v4
	s_nop 0
	v_addc_co_u32_e32 v11, vcc, 0, v10, vcc
	v_mul_lo_u32 v10, v12, v14
	v_lshl_add_u64 v[8:9], v[8:9], 0, v[10:11]
	v_add_co_u32_e32 v5, vcc, v5, v8
	v_mul_lo_u32 v10, s2, v5
	s_nop 0
	v_addc_co_u32_e32 v12, vcc, v12, v9, vcc
	v_mul_lo_u32 v8, s2, v12
	v_mul_hi_u32 v9, s2, v5
	v_add_u32_e32 v8, v9, v8
	v_mul_lo_u32 v9, s3, v5
	v_add_u32_e32 v13, v8, v9
	v_mul_hi_u32 v15, v12, v10
	v_mul_lo_u32 v16, v12, v10
	v_mul_hi_u32 v9, v5, v13
	v_mul_lo_u32 v8, v5, v13
	v_mul_hi_u32 v10, v5, v10
	v_mov_b32_e32 v11, v4
	v_lshl_add_u64 v[8:9], v[10:11], 0, v[8:9]
	v_add_co_u32_e32 v8, vcc, v8, v16
	v_mul_hi_u32 v14, v12, v13
	s_nop 0
	v_addc_co_u32_e32 v8, vcc, v9, v15, vcc
	v_mul_lo_u32 v10, v12, v13
	s_nop 0
	v_addc_co_u32_e32 v11, vcc, 0, v14, vcc
	v_mov_b32_e32 v9, v4
	v_lshl_add_u64 v[8:9], v[8:9], 0, v[10:11]
	v_add_co_u32_e32 v5, vcc, v5, v8
	v_mul_hi_u32 v10, v6, v5
	s_nop 0
	v_addc_co_u32_e32 v12, vcc, v12, v9, vcc
	v_mad_u64_u32 v[8:9], s[2:3], v6, v12, 0
	v_mov_b32_e32 v11, v4
	v_lshl_add_u64 v[8:9], v[10:11], 0, v[8:9]
	v_mad_u64_u32 v[10:11], s[2:3], v7, v12, 0
	v_mad_u64_u32 v[12:13], s[2:3], v7, v5, 0
	v_add_co_u32_e32 v5, vcc, v8, v12
	s_nop 1
	v_addc_co_u32_e32 v8, vcc, v9, v13, vcc
	v_mov_b32_e32 v9, v4
	s_nop 0
	v_addc_co_u32_e32 v11, vcc, 0, v11, vcc
	v_lshl_add_u64 v[8:9], v[8:9], 0, v[10:11]
	v_mul_lo_u32 v5, s19, v8
	v_mul_lo_u32 v12, s18, v9
	v_mad_u64_u32 v[10:11], s[2:3], s18, v8, 0
	v_add3_u32 v5, v11, v12, v5
	v_sub_u32_e32 v11, v7, v5
	v_mov_b32_e32 v12, s19
	v_sub_co_u32_e32 v14, vcc, v6, v10
	s_nop 1
	v_subb_co_u32_e64 v10, s[2:3], v11, v12, vcc
	v_subrev_co_u32_e64 v11, s[2:3], s18, v14
	v_subb_co_u32_e32 v5, vcc, v7, v5, vcc
	s_nop 0
	v_subbrev_co_u32_e64 v10, s[2:3], 0, v10, s[2:3]
	v_cmp_le_u32_e64 s[2:3], s19, v10
	v_cmp_le_u32_e32 vcc, s19, v5
	s_nop 0
	v_cndmask_b32_e64 v12, 0, -1, s[2:3]
	v_cmp_le_u32_e64 s[2:3], s18, v11
	s_nop 1
	v_cndmask_b32_e64 v11, 0, -1, s[2:3]
	v_cmp_eq_u32_e64 s[2:3], s19, v10
	s_nop 1
	v_cndmask_b32_e64 v15, v12, v11, s[2:3]
	v_lshl_add_u64 v[10:11], v[8:9], 0, 2
	v_lshl_add_u64 v[12:13], v[8:9], 0, 1
	v_cmp_ne_u32_e64 s[2:3], 0, v15
	s_nop 1
	v_cndmask_b32_e64 v11, v13, v11, s[2:3]
	v_cndmask_b32_e64 v13, 0, -1, vcc
	v_cmp_le_u32_e32 vcc, s18, v14
	s_nop 1
	v_cndmask_b32_e64 v14, 0, -1, vcc
	v_cmp_eq_u32_e32 vcc, s19, v5
	s_nop 1
	v_cndmask_b32_e32 v5, v13, v14, vcc
	v_cmp_ne_u32_e32 vcc, 0, v5
	v_cndmask_b32_e64 v5, v12, v10, s[2:3]
	s_nop 0
	v_cndmask_b32_e32 v9, v9, v11, vcc
	v_cndmask_b32_e32 v8, v8, v5, vcc
.LBB0_4:                                ;   in Loop: Header=BB0_2 Depth=1
	s_andn2_saveexec_b64 s[2:3], s[20:21]
	s_cbranch_execz .LBB0_6
; %bb.5:                                ;   in Loop: Header=BB0_2 Depth=1
	v_cvt_f32_u32_e32 v5, s18
	s_sub_i32 s20, 0, s18
	v_rcp_iflag_f32_e32 v5, v5
	s_nop 0
	v_mul_f32_e32 v5, 0x4f7ffffe, v5
	v_cvt_u32_f32_e32 v5, v5
	v_mul_lo_u32 v8, s20, v5
	v_mul_hi_u32 v8, v5, v8
	v_add_u32_e32 v5, v5, v8
	v_mul_hi_u32 v5, v6, v5
	v_mul_lo_u32 v8, v5, s18
	v_sub_u32_e32 v8, v6, v8
	v_add_u32_e32 v9, 1, v5
	v_subrev_u32_e32 v10, s18, v8
	v_cmp_le_u32_e32 vcc, s18, v8
	s_nop 1
	v_cndmask_b32_e32 v8, v8, v10, vcc
	v_cndmask_b32_e32 v5, v5, v9, vcc
	v_add_u32_e32 v9, 1, v5
	v_cmp_le_u32_e32 vcc, s18, v8
	s_nop 1
	v_cndmask_b32_e32 v8, v5, v9, vcc
	v_mov_b32_e32 v9, v4
.LBB0_6:                                ;   in Loop: Header=BB0_2 Depth=1
	s_or_b64 exec, exec, s[2:3]
	v_mad_u64_u32 v[10:11], s[2:3], v8, s18, 0
	s_load_dwordx2 s[2:3], s[12:13], 0x0
	v_mul_lo_u32 v5, v9, s18
	v_mul_lo_u32 v12, v8, s19
	v_add3_u32 v5, v11, v12, v5
	v_sub_co_u32_e32 v6, vcc, v6, v10
	s_add_u32 s14, s14, 1
	s_nop 0
	v_subb_co_u32_e32 v5, vcc, v7, v5, vcc
	s_addc_u32 s15, s15, 0
	s_waitcnt lgkmcnt(0)
	v_mul_lo_u32 v5, s2, v5
	v_mul_lo_u32 v7, s3, v6
	v_mad_u64_u32 v[2:3], s[2:3], s2, v6, v[2:3]
	s_add_u32 s12, s12, 8
	v_add3_u32 v3, v7, v3, v5
	s_addc_u32 s13, s13, 0
	v_mov_b64_e32 v[6:7], s[6:7]
	s_add_u32 s16, s16, 8
	v_cmp_ge_u64_e32 vcc, s[14:15], v[6:7]
	s_addc_u32 s17, s17, 0
	s_cbranch_vccnz .LBB0_9
; %bb.7:                                ;   in Loop: Header=BB0_2 Depth=1
	v_mov_b64_e32 v[6:7], v[8:9]
	s_branch .LBB0_2
.LBB0_8:
	v_mov_b64_e32 v[8:9], v[6:7]
.LBB0_9:
	s_lshl_b64 s[2:3], s[6:7], 3
	s_add_u32 s2, s10, s2
	s_addc_u32 s3, s11, s3
	s_load_dwordx2 s[6:7], s[2:3], 0x0
	s_load_dwordx2 s[10:11], s[0:1], 0x20
	v_and_b32_e32 v1, 3, v1
	s_waitcnt lgkmcnt(0)
	v_mad_u64_u32 v[6:7], s[0:1], s6, v8, v[2:3]
	v_mul_lo_u32 v4, s6, v9
	v_mul_lo_u32 v5, s7, v8
	s_mov_b32 s0, 0x13b13b14
	v_add3_u32 v7, v5, v7, v4
	v_mul_u32_u24_e32 v4, 0xb7, v1
	v_mul_hi_u32 v1, v0, s0
	v_mul_u32_u24_e32 v1, 13, v1
	v_sub_u32_e32 v2, v0, v1
	v_cmp_gt_u64_e32 vcc, s[10:11], v[8:9]
	v_mov_b32_e32 v3, 0
	v_lshl_add_u64 v[48:49], v[6:7], 3, s[8:9]
	v_lshlrev_b32_e32 v134, 3, v4
	v_mov_b32_e32 v50, v2
	s_and_saveexec_b64 s[2:3], vcc
	s_cbranch_execz .LBB0_13
; %bb.10:
	v_lshl_add_u64 v[0:1], v[2:3], 3, v[48:49]
	global_load_dwordx2 v[6:7], v[0:1], off
	global_load_dwordx2 v[8:9], v[0:1], off offset:104
	global_load_dwordx2 v[10:11], v[0:1], off offset:208
	global_load_dwordx2 v[12:13], v[0:1], off offset:312
	global_load_dwordx2 v[14:15], v[0:1], off offset:416
	global_load_dwordx2 v[16:17], v[0:1], off offset:520
	global_load_dwordx2 v[18:19], v[0:1], off offset:624
	global_load_dwordx2 v[20:21], v[0:1], off offset:728
	global_load_dwordx2 v[22:23], v[0:1], off offset:832
	global_load_dwordx2 v[24:25], v[0:1], off offset:936
	global_load_dwordx2 v[26:27], v[0:1], off offset:1040
	global_load_dwordx2 v[28:29], v[0:1], off offset:1144
	global_load_dwordx2 v[30:31], v[0:1], off offset:1248
	global_load_dwordx2 v[32:33], v[0:1], off offset:1352
	v_lshlrev_b32_e32 v0, 3, v2
	v_cmp_eq_u32_e64 s[0:1], 12, v2
	v_add3_u32 v5, 0, v134, v0
	v_mov_b64_e32 v[0:1], v[2:3]
	s_waitcnt vmcnt(12)
	ds_write2_b64 v5, v[6:7], v[8:9] offset1:13
	s_waitcnt vmcnt(10)
	ds_write2_b64 v5, v[10:11], v[12:13] offset0:26 offset1:39
	s_waitcnt vmcnt(8)
	ds_write2_b64 v5, v[14:15], v[16:17] offset0:52 offset1:65
	;; [unrolled: 2-line block ×6, first 2 shown]
	s_and_saveexec_b64 s[6:7], s[0:1]
	s_cbranch_execz .LBB0_12
; %bb.11:
	global_load_dwordx2 v[0:1], v[48:49], off offset:1456
	v_mov_b32_e32 v2, 12
	s_waitcnt vmcnt(0)
	ds_write_b64 v5, v[0:1] offset:1360
	v_mov_b64_e32 v[0:1], 12
.LBB0_12:
	s_or_b64 exec, exec, s[6:7]
	v_mov_b32_e32 v50, v2
	v_mov_b64_e32 v[2:3], v[0:1]
.LBB0_13:
	s_or_b64 exec, exec, s[2:3]
	v_lshl_add_u32 v132, v4, 3, 0
	v_lshlrev_b32_e32 v0, 3, v50
	v_add_u32_e32 v133, v132, v0
	s_waitcnt lgkmcnt(0)
	; wave barrier
	s_waitcnt lgkmcnt(0)
	v_sub_u32_e32 v4, v132, v0
	ds_read_b32 v1, v133
	ds_read_b32 v5, v4 offset:1456
	v_cmp_eq_u32_e64 s[0:1], 0, v50
	v_cmp_ne_u32_e64 s[2:3], 0, v50
	v_lshl_add_u64 v[52:53], v[2:3], 3, s[4:5]
	s_waitcnt lgkmcnt(0)
	v_add_f32_e32 v0, v5, v1
	v_sub_f32_e32 v1, v1, v5
	s_and_saveexec_b64 s[6:7], s[2:3]
	s_xor_b64 s[2:3], exec, s[6:7]
	s_cbranch_execz .LBB0_15
; %bb.14:
	global_load_dwordx2 v[2:3], v[52:53], off offset:1352
	ds_read_b32 v5, v4 offset:1460
	ds_read_b32 v9, v133 offset:4
	v_mov_b32_e32 v6, v1
	v_mov_b32_e32 v8, v0
	;; [unrolled: 1-line block ×3, first 2 shown]
	s_waitcnt lgkmcnt(0)
	v_add_f32_e32 v7, v5, v9
	v_sub_f32_e32 v9, v9, v5
	v_mov_b32_e32 v10, v7
	s_waitcnt vmcnt(0)
	v_pk_mul_f32 v[12:13], v[6:7], v[2:3] op_sel:[0,1]
	v_pk_fma_f32 v[6:7], v[6:7], v[2:3], v[8:9] op_sel:[0,1,0]
	v_mov_b32_e32 v1, v13
	v_mov_b32_e32 v13, v9
	v_pk_fma_f32 v[14:15], v[2:3], v[10:11], v[6:7] neg_lo:[1,0,0] neg_hi:[1,0,0]
	v_pk_fma_f32 v[6:7], v[2:3], v[10:11], v[6:7] op_sel_hi:[0,1,1]
	v_pk_add_f32 v[0:1], v[0:1], v[12:13] neg_lo:[0,1] neg_hi:[0,1]
	v_mov_b32_e32 v15, v7
	v_pk_fma_f32 v[0:1], v[2:3], v[10:11], v[0:1] op_sel_hi:[0,1,1]
	ds_write_b64 v4, v[0:1] offset:1456
	v_mov_b64_e32 v[0:1], v[14:15]
.LBB0_15:
	s_andn2_saveexec_b64 s[2:3], s[2:3]
	s_cbranch_execz .LBB0_17
; %bb.16:
	ds_read_b64 v[2:3], v132 offset:728
	s_mov_b32 s6, 2.0
	s_mov_b32 s7, -2.0
	s_waitcnt lgkmcnt(0)
	v_pk_mul_f32 v[2:3], v[2:3], s[6:7]
	ds_write_b64 v132, v[2:3] offset:728
.LBB0_17:
	s_or_b64 exec, exec, s[2:3]
	s_add_u32 s2, s4, 0x548
	s_addc_u32 s3, s5, 0
	v_mov_b32_e32 v51, 0
	v_lshl_add_u64 v[2:3], v[50:51], 3, s[2:3]
	global_load_dwordx2 v[6:7], v[2:3], off offset:104
	global_load_dwordx2 v[8:9], v[2:3], off offset:208
	global_load_dwordx2 v[10:11], v[2:3], off offset:312
	global_load_dwordx2 v[12:13], v[2:3], off offset:416
	ds_write_b64 v133, v[0:1]
	ds_read_b64 v[0:1], v133 offset:104
	ds_read_b64 v[14:15], v4 offset:1352
	global_load_dwordx2 v[16:17], v[2:3], off offset:520
	v_lshl_add_u32 v5, v50, 3, 0
	v_add_u32_e32 v51, v5, v134
	s_mov_b32 s2, 0xbeedf032
	s_waitcnt lgkmcnt(0)
	v_pk_add_f32 v[18:19], v[0:1], v[14:15]
	v_pk_add_f32 v[0:1], v[0:1], v[14:15] neg_lo:[0,1] neg_hi:[0,1]
	v_mov_b32_e32 v14, v19
	v_mov_b32_e32 v15, v0
	;; [unrolled: 1-line block ×3, first 2 shown]
	s_mov_b32 s3, 0x3f62ad3f
	s_mov_b32 s6, 0xbf52af12
	;; [unrolled: 1-line block ×47, first 2 shown]
	s_waitcnt vmcnt(4)
	v_pk_mul_f32 v[20:21], v[14:15], v[6:7] op_sel:[0,1]
	s_nop 0
	v_pk_add_f32 v[22:23], v[18:19], v[20:21] op_sel:[0,1] op_sel_hi:[1,0]
	v_mov_b32_e32 v19, v20
	v_mov_b32_e32 v0, v21
	v_pk_fma_f32 v[20:21], v[6:7], v[14:15], v[22:23] neg_lo:[1,0,0] neg_hi:[1,0,0]
	v_pk_fma_f32 v[22:23], v[6:7], v[14:15], v[22:23] op_sel_hi:[0,1,1]
	v_pk_add_f32 v[0:1], v[18:19], v[0:1] neg_lo:[0,1] neg_hi:[0,1]
	v_mov_b32_e32 v21, v23
	v_pk_fma_f32 v[0:1], v[6:7], v[14:15], v[0:1] op_sel_hi:[0,1,1]
	ds_write_b64 v133, v[20:21] offset:104
	ds_write_b64 v4, v[0:1] offset:1352
	ds_read_b64 v[0:1], v4 offset:1248
	ds_read_b64 v[6:7], v133 offset:208
	global_load_dwordx2 v[2:3], v[2:3], off offset:624
	s_waitcnt lgkmcnt(0)
	v_pk_add_f32 v[14:15], v[6:7], v[0:1]
	v_pk_add_f32 v[0:1], v[6:7], v[0:1] neg_lo:[0,1] neg_hi:[0,1]
	v_mov_b32_e32 v6, v15
	v_mov_b32_e32 v7, v0
	v_mov_b32_e32 v15, v1
	s_waitcnt vmcnt(4)
	v_pk_mul_f32 v[18:19], v[6:7], v[8:9] op_sel:[0,1]
	s_nop 0
	v_pk_add_f32 v[20:21], v[14:15], v[18:19] op_sel:[0,1] op_sel_hi:[1,0]
	v_mov_b32_e32 v15, v18
	v_mov_b32_e32 v0, v19
	v_pk_fma_f32 v[18:19], v[8:9], v[6:7], v[20:21] neg_lo:[1,0,0] neg_hi:[1,0,0]
	v_pk_fma_f32 v[20:21], v[8:9], v[6:7], v[20:21] op_sel_hi:[0,1,1]
	v_pk_add_f32 v[0:1], v[14:15], v[0:1] neg_lo:[0,1] neg_hi:[0,1]
	v_mov_b32_e32 v19, v21
	v_pk_fma_f32 v[0:1], v[8:9], v[6:7], v[0:1] op_sel_hi:[0,1,1]
	ds_write_b64 v133, v[18:19] offset:208
	ds_write_b64 v4, v[0:1] offset:1248
	ds_read_b64 v[0:1], v4 offset:1144
	ds_read_b64 v[6:7], v133 offset:312
	s_waitcnt lgkmcnt(0)
	v_pk_add_f32 v[8:9], v[6:7], v[0:1]
	v_pk_add_f32 v[0:1], v[6:7], v[0:1] neg_lo:[0,1] neg_hi:[0,1]
	v_mov_b32_e32 v6, v9
	v_mov_b32_e32 v7, v0
	v_mov_b32_e32 v9, v1
	s_waitcnt vmcnt(3)
	v_pk_mul_f32 v[14:15], v[6:7], v[10:11] op_sel:[0,1]
	s_nop 0
	v_pk_add_f32 v[18:19], v[8:9], v[14:15] op_sel:[0,1] op_sel_hi:[1,0]
	v_mov_b32_e32 v9, v14
	v_mov_b32_e32 v0, v15
	v_pk_fma_f32 v[14:15], v[10:11], v[6:7], v[18:19] neg_lo:[1,0,0] neg_hi:[1,0,0]
	v_pk_fma_f32 v[18:19], v[10:11], v[6:7], v[18:19] op_sel_hi:[0,1,1]
	v_pk_add_f32 v[0:1], v[8:9], v[0:1] neg_lo:[0,1] neg_hi:[0,1]
	v_mov_b32_e32 v15, v19
	v_pk_fma_f32 v[0:1], v[10:11], v[6:7], v[0:1] op_sel_hi:[0,1,1]
	ds_write_b64 v133, v[14:15] offset:312
	ds_write_b64 v4, v[0:1] offset:1144
	ds_read_b64 v[0:1], v4 offset:1040
	ds_read_b64 v[6:7], v133 offset:416
	;; [unrolled: 21-line block ×4, first 2 shown]
	s_waitcnt lgkmcnt(0)
	v_pk_add_f32 v[8:9], v[6:7], v[0:1]
	v_pk_add_f32 v[0:1], v[6:7], v[0:1] neg_lo:[0,1] neg_hi:[0,1]
	v_mov_b32_e32 v6, v9
	v_mov_b32_e32 v7, v0
	;; [unrolled: 1-line block ×3, first 2 shown]
	s_waitcnt vmcnt(0)
	v_pk_mul_f32 v[10:11], v[6:7], v[2:3] op_sel:[0,1]
	s_nop 0
	v_pk_add_f32 v[12:13], v[8:9], v[10:11] op_sel:[0,1] op_sel_hi:[1,0]
	v_mov_b32_e32 v9, v10
	v_mov_b32_e32 v0, v11
	v_pk_fma_f32 v[10:11], v[2:3], v[6:7], v[12:13] neg_lo:[1,0,0] neg_hi:[1,0,0]
	v_pk_fma_f32 v[12:13], v[2:3], v[6:7], v[12:13] op_sel_hi:[0,1,1]
	v_pk_add_f32 v[0:1], v[8:9], v[0:1] neg_lo:[0,1] neg_hi:[0,1]
	v_mov_b32_e32 v11, v13
	v_pk_fma_f32 v[0:1], v[2:3], v[6:7], v[0:1] op_sel_hi:[0,1,1]
	ds_write_b64 v133, v[10:11] offset:624
	ds_write_b64 v4, v[0:1] offset:832
	s_waitcnt lgkmcnt(0)
	; wave barrier
	s_waitcnt lgkmcnt(0)
	s_waitcnt lgkmcnt(0)
	; wave barrier
	s_waitcnt lgkmcnt(0)
	ds_read2_b64 v[16:19], v51 offset0:27 offset1:28
	ds_read2_b64 v[20:23], v51 offset0:41 offset1:42
	;; [unrolled: 1-line block ×5, first 2 shown]
	ds_read_b64 v[54:55], v51 offset:1448
	ds_read2_b64 v[0:3], v51 offset0:13 offset1:14
	ds_read_b64 v[56:57], v133
	s_waitcnt lgkmcnt(4)
	v_pk_add_f32 v[96:97], v[10:11], v[18:19]
	v_pk_add_f32 v[24:25], v[18:19], v[10:11] neg_lo:[0,1] neg_hi:[0,1]
	v_mov_b32_e32 v59, v97
	s_waitcnt lgkmcnt(1)
	v_pk_add_f32 v[98:99], v[14:15], v[2:3]
	v_pk_add_f32 v[28:29], v[2:3], v[14:15] neg_lo:[0,1] neg_hi:[0,1]
	v_mov_b32_e32 v61, v99
	v_mov_b32_e32 v99, v28
	;; [unrolled: 1-line block ×4, first 2 shown]
	v_pk_mul_f32 v[64:65], v[98:99], s[38:39]
	v_mov_b32_e32 v58, v25
	v_pk_fma_f32 v[24:25], v[60:61], s[2:3], v[64:65] neg_lo:[1,0,0] neg_hi:[1,0,0]
	v_pk_fma_f32 v[62:63], v[60:61], s[2:3], v[64:65]
	v_pk_mul_f32 v[68:69], v[96:97], s[16:17]
	v_mov_b32_e32 v25, v63
	v_pk_fma_f32 v[28:29], v[58:59], s[6:7], v[68:69] neg_lo:[1,0,0] neg_hi:[1,0,0]
	v_pk_fma_f32 v[66:67], v[58:59], s[6:7], v[68:69]
	v_pk_add_f32 v[94:95], v[6:7], v[22:23]
	v_pk_add_f32 v[26:27], v[22:23], v[6:7] neg_lo:[0,1] neg_hi:[0,1]
	s_waitcnt lgkmcnt(0)
	v_pk_add_f32 v[24:25], v[56:57], v[24:25]
	v_mov_b32_e32 v29, v67
	v_pk_add_f32 v[32:33], v[28:29], v[24:25]
	v_mov_b32_e32 v70, v27
	v_mov_b32_e32 v71, v95
	;; [unrolled: 1-line block ×3, first 2 shown]
	ds_read2_b64 v[24:27], v51 offset0:125 offset1:126
	ds_read2_b64 v[28:31], v51 offset0:55 offset1:56
	v_pk_mul_f32 v[72:73], v[94:95], s[28:29]
	v_pk_add_f32 v[2:3], v[56:57], v[2:3]
	v_pk_fma_f32 v[34:35], v[70:71], s[8:9], v[72:73] neg_lo:[1,0,0] neg_hi:[1,0,0]
	v_pk_fma_f32 v[74:75], v[70:71], s[8:9], v[72:73]
	s_waitcnt lgkmcnt(0)
	v_pk_add_f32 v[100:101], v[26:27], v[30:31]
	v_mov_b32_e32 v35, v75
	v_pk_add_f32 v[40:41], v[34:35], v[32:33]
	ds_read2_b64 v[32:35], v51 offset0:69 offset1:70
	ds_read2_b64 v[36:39], v51 offset0:111 offset1:112
	v_pk_add_f32 v[42:43], v[30:31], v[26:27] neg_lo:[0,1] neg_hi:[0,1]
	v_mov_b32_e32 v77, v101
	v_mov_b32_e32 v101, v42
	;; [unrolled: 1-line block ×3, first 2 shown]
	v_pk_mul_f32 v[80:81], v[100:101], s[24:25]
	s_waitcnt lgkmcnt(0)
	v_pk_add_f32 v[102:103], v[38:39], v[34:35]
	v_pk_fma_f32 v[42:43], v[76:77], s[10:11], v[80:81] neg_lo:[1,0,0] neg_hi:[1,0,0]
	v_pk_fma_f32 v[78:79], v[76:77], s[10:11], v[80:81]
	v_mov_b32_e32 v83, v103
	v_mov_b32_e32 v43, v79
	v_pk_add_f32 v[88:89], v[42:43], v[40:41]
	v_pk_add_f32 v[40:41], v[34:35], v[38:39] neg_lo:[0,1] neg_hi:[0,1]
	v_pk_add_f32 v[2:3], v[2:3], v[18:19]
	v_mov_b32_e32 v82, v41
	v_mov_b32_e32 v103, v40
	ds_read2_b64 v[40:43], v51 offset0:83 offset1:84
	ds_read2_b64 v[44:47], v51 offset0:97 offset1:98
	v_pk_add_f32 v[2:3], v[2:3], v[22:23]
	v_pk_mul_f32 v[84:85], v[102:103], s[26:27]
	v_pk_add_f32 v[2:3], v[2:3], v[30:31]
	v_pk_fma_f32 v[90:91], v[82:83], s[12:13], v[84:85] neg_lo:[1,0,0] neg_hi:[1,0,0]
	v_pk_fma_f32 v[86:87], v[82:83], s[12:13], v[84:85]
	v_pk_add_f32 v[2:3], v[2:3], v[34:35]
	v_mov_b32_e32 v91, v87
	s_waitcnt lgkmcnt(1)
	v_pk_add_f32 v[2:3], v[2:3], v[42:43]
	v_pk_add_f32 v[106:107], v[90:91], v[88:89]
	s_waitcnt lgkmcnt(0)
	v_pk_add_f32 v[104:105], v[46:47], v[42:43]
	v_pk_add_f32 v[90:91], v[42:43], v[46:47] neg_lo:[0,1] neg_hi:[0,1]
	v_pk_add_f32 v[2:3], v[2:3], v[46:47]
	v_mov_b32_e32 v89, v105
	v_mov_b32_e32 v105, v90
	v_pk_add_f32 v[2:3], v[2:3], v[38:39]
	v_mov_b32_e32 v88, v91
	v_pk_mul_f32 v[92:93], v[104:105], s[30:31]
	v_pk_add_f32 v[2:3], v[2:3], v[26:27]
	v_pk_fma_f32 v[108:109], v[88:89], s[14:15], v[92:93] neg_lo:[1,0,0] neg_hi:[1,0,0]
	v_pk_fma_f32 v[90:91], v[88:89], s[14:15], v[92:93]
	v_pk_add_f32 v[2:3], v[2:3], v[6:7]
	v_mov_b32_e32 v109, v91
	v_mul_u32_u24_e32 v63, 0x68, v50
	v_pk_add_f32 v[2:3], v[2:3], v[10:11]
	v_pk_add_f32 v[106:107], v[108:109], v[106:107]
	v_add3_u32 v135, 0, v63, v134
	v_pk_add_f32 v[2:3], v[2:3], v[14:15]
	v_pk_mul_f32 v[10:11], v[98:99], s[16:17]
	s_waitcnt lgkmcnt(0)
	; wave barrier
	ds_write2_b64 v135, v[2:3], v[106:107] offset1:1
	v_pk_fma_f32 v[18:19], v[60:61], s[6:7], v[10:11] neg_lo:[1,0,0] neg_hi:[1,0,0]
	v_pk_fma_f32 v[2:3], v[60:61], s[6:7], v[10:11]
	v_pk_mul_f32 v[14:15], v[96:97], s[24:25]
	v_mov_b32_e32 v19, v3
	v_pk_fma_f32 v[22:23], v[58:59], s[10:11], v[14:15] neg_lo:[1,0,0] neg_hi:[1,0,0]
	v_pk_fma_f32 v[6:7], v[58:59], s[10:11], v[14:15]
	v_pk_add_f32 v[18:19], v[56:57], v[18:19]
	v_mov_b32_e32 v23, v7
	v_pk_mul_f32 v[26:27], v[94:95], s[30:31]
	v_pk_add_f32 v[22:23], v[22:23], v[18:19]
	v_pk_fma_f32 v[30:31], v[70:71], s[14:15], v[26:27] neg_lo:[1,0,0] neg_hi:[1,0,0]
	v_pk_fma_f32 v[18:19], v[70:71], s[14:15], v[26:27]
	v_pk_mul_f32 v[34:35], v[100:101], s[46:47]
	v_mov_b32_e32 v31, v19
	v_pk_add_f32 v[30:31], v[30:31], v[22:23]
	v_pk_fma_f32 v[38:39], v[76:77], s[18:19], v[34:35] neg_lo:[1,0,0] neg_hi:[1,0,0]
	v_pk_fma_f32 v[22:23], v[76:77], s[18:19], v[34:35]
	v_pk_mul_f32 v[110:111], v[98:99], s[28:29]
	v_mov_b32_e32 v39, v23
	v_pk_add_f32 v[42:43], v[38:39], v[30:31]
	v_pk_mul_f32 v[38:39], v[102:103], s[36:37]
	v_pk_fma_f32 v[114:115], v[60:61], s[8:9], v[110:111] neg_lo:[1,0,0] neg_hi:[1,0,0]
	v_pk_fma_f32 v[46:47], v[82:83], s[20:21], v[38:39] neg_lo:[1,0,0] neg_hi:[1,0,0]
	v_pk_fma_f32 v[30:31], v[82:83], s[20:21], v[38:39]
	v_pk_mul_f32 v[112:113], v[96:97], s[30:31]
	v_mov_b32_e32 v47, v31
	v_pk_add_f32 v[106:107], v[46:47], v[42:43]
	v_pk_mul_f32 v[46:47], v[104:105], s[40:41]
	v_pk_fma_f32 v[116:117], v[58:59], s[14:15], v[112:113] neg_lo:[1,0,0] neg_hi:[1,0,0]
	v_pk_fma_f32 v[108:109], v[88:89], s[22:23], v[46:47] neg_lo:[1,0,0] neg_hi:[1,0,0]
	v_pk_fma_f32 v[42:43], v[88:89], s[22:23], v[46:47]
	v_pk_mul_f32 v[120:121], v[94:95], s[52:53]
	v_mov_b32_e32 v109, v43
	v_pk_add_f32 v[130:131], v[108:109], v[106:107]
	v_pk_fma_f32 v[106:107], v[60:61], s[8:9], v[110:111]
	v_pk_fma_f32 v[108:109], v[58:59], s[14:15], v[112:113]
	v_mov_b32_e32 v115, v107
	v_mov_b32_e32 v117, v109
	v_pk_add_f32 v[114:115], v[56:57], v[114:115]
	v_pk_fma_f32 v[118:119], v[70:71], s[34:35], v[120:121] neg_lo:[1,0,0] neg_hi:[1,0,0]
	v_pk_add_f32 v[116:117], v[116:117], v[114:115]
	v_pk_fma_f32 v[114:115], v[70:71], s[34:35], v[120:121]
	v_pk_mul_f32 v[124:125], v[100:101], s[40:41]
	v_mov_b32_e32 v119, v115
	v_pk_add_f32 v[118:119], v[118:119], v[116:117]
	v_pk_fma_f32 v[122:123], v[76:77], s[22:23], v[124:125] neg_lo:[1,0,0] neg_hi:[1,0,0]
	v_pk_fma_f32 v[116:117], v[76:77], s[22:23], v[124:125]
	v_pk_mul_f32 v[126:127], v[102:103], s[16:17]
	v_mov_b32_e32 v123, v117
	v_pk_add_f32 v[122:123], v[122:123], v[118:119]
	v_pk_fma_f32 v[128:129], v[82:83], s[6:7], v[126:127] neg_lo:[1,0,0] neg_hi:[1,0,0]
	v_pk_fma_f32 v[118:119], v[82:83], s[6:7], v[126:127]
	v_pk_mul_f32 v[140:141], v[96:97], s[46:47]
	v_mov_b32_e32 v129, v119
	v_pk_add_f32 v[136:137], v[128:129], v[122:123]
	v_pk_mul_f32 v[128:129], v[104:105], s[26:27]
	v_pk_fma_f32 v[142:143], v[58:59], s[18:19], v[140:141] neg_lo:[1,0,0] neg_hi:[1,0,0]
	v_pk_fma_f32 v[138:139], v[88:89], s[12:13], v[128:129] neg_lo:[1,0,0] neg_hi:[1,0,0]
	v_pk_fma_f32 v[122:123], v[88:89], s[12:13], v[128:129]
	v_pk_fma_f32 v[144:145], v[58:59], s[18:19], v[140:141]
	v_mov_b32_e32 v139, v123
	v_pk_add_f32 v[136:137], v[138:139], v[136:137]
	ds_write2_b64 v135, v[130:131], v[136:137] offset0:2 offset1:3
	v_pk_mul_f32 v[136:137], v[98:99], s[24:25]
	v_mov_b32_e32 v143, v145
	v_pk_fma_f32 v[138:139], v[60:61], s[10:11], v[136:137] neg_lo:[1,0,0] neg_hi:[1,0,0]
	v_pk_fma_f32 v[130:131], v[60:61], s[10:11], v[136:137]
	v_pk_mul_f32 v[166:167], v[96:97], s[36:37]
	v_mov_b32_e32 v139, v131
	v_pk_add_f32 v[138:139], v[56:57], v[138:139]
	v_pk_fma_f32 v[168:169], v[58:59], s[20:21], v[166:167] neg_lo:[1,0,0] neg_hi:[1,0,0]
	v_pk_add_f32 v[138:139], v[142:143], v[138:139]
	v_pk_mul_f32 v[142:143], v[94:95], s[40:41]
	v_pk_fma_f32 v[170:171], v[58:59], s[20:21], v[166:167]
	v_pk_fma_f32 v[146:147], v[70:71], s[22:23], v[142:143] neg_lo:[1,0,0] neg_hi:[1,0,0]
	v_pk_fma_f32 v[148:149], v[70:71], s[22:23], v[142:143]
	v_mov_b32_e32 v169, v171
	v_mov_b32_e32 v147, v149
	v_pk_add_f32 v[138:139], v[146:147], v[138:139]
	v_pk_mul_f32 v[146:147], v[100:101], s[28:29]
	v_pk_mul_f32 v[96:97], v[96:97], s[40:41]
	v_pk_fma_f32 v[150:151], v[76:77], s[8:9], v[146:147] neg_lo:[1,0,0] neg_hi:[1,0,0]
	v_pk_fma_f32 v[152:153], v[76:77], s[8:9], v[146:147]
	v_pk_fma_f32 v[188:189], v[58:59], s[22:23], v[96:97]
	v_mov_b32_e32 v151, v153
	v_pk_add_f32 v[138:139], v[150:151], v[138:139]
	v_pk_mul_f32 v[150:151], v[102:103], s[50:51]
	v_pk_fma_f32 v[10:11], v[60:61], s[6:7], v[10:11] neg_lo:[0,0,1] neg_hi:[0,0,1]
	v_pk_fma_f32 v[154:155], v[82:83], s[42:43], v[150:151] neg_lo:[1,0,0] neg_hi:[1,0,0]
	v_pk_fma_f32 v[156:157], v[82:83], s[42:43], v[150:151]
	v_mov_b32_e32 v3, v11
	v_mov_b32_e32 v155, v157
	v_pk_add_f32 v[138:139], v[154:155], v[138:139]
	v_pk_mul_f32 v[154:155], v[104:105], s[48:49]
	v_pk_fma_f32 v[10:11], v[58:59], s[10:11], v[14:15] neg_lo:[0,0,1] neg_hi:[0,0,1]
	v_pk_fma_f32 v[158:159], v[88:89], s[44:45], v[154:155] neg_lo:[1,0,0] neg_hi:[1,0,0]
	v_pk_fma_f32 v[160:161], v[88:89], s[44:45], v[154:155]
	v_mov_b32_e32 v7, v11
	v_mov_b32_e32 v159, v161
	v_pk_add_f32 v[138:139], v[158:159], v[138:139]
	v_pk_mul_f32 v[158:159], v[98:99], s[26:27]
	v_pk_mul_f32 v[98:99], v[98:99], s[30:31]
	v_pk_fma_f32 v[162:163], v[60:61], s[12:13], v[158:159] neg_lo:[1,0,0] neg_hi:[1,0,0]
	v_pk_fma_f32 v[164:165], v[60:61], s[12:13], v[158:159]
	v_pk_fma_f32 v[10:11], v[70:71], s[14:15], v[26:27] neg_lo:[0,0,1] neg_hi:[0,0,1]
	v_mov_b32_e32 v163, v165
	v_pk_add_f32 v[162:163], v[56:57], v[162:163]
	v_pk_add_f32 v[2:3], v[56:57], v[2:3]
	v_pk_add_f32 v[162:163], v[168:169], v[162:163]
	v_pk_mul_f32 v[168:169], v[94:95], s[16:17]
	v_pk_mul_f32 v[94:95], v[94:95], s[26:27]
	v_pk_fma_f32 v[172:173], v[70:71], s[6:7], v[168:169] neg_lo:[1,0,0] neg_hi:[1,0,0]
	v_pk_fma_f32 v[174:175], v[70:71], s[6:7], v[168:169]
	v_pk_fma_f32 v[190:191], v[70:71], s[12:13], v[94:95]
	v_mov_b32_e32 v173, v175
	v_pk_add_f32 v[162:163], v[172:173], v[162:163]
	v_pk_mul_f32 v[172:173], v[100:101], s[50:51]
	v_pk_mul_f32 v[100:101], v[100:101], s[48:49]
	v_pk_fma_f32 v[176:177], v[76:77], s[42:43], v[172:173] neg_lo:[1,0,0] neg_hi:[1,0,0]
	v_pk_fma_f32 v[178:179], v[76:77], s[42:43], v[172:173]
	v_pk_fma_f32 v[192:193], v[76:77], s[44:45], v[100:101]
	v_mov_b32_e32 v177, v179
	v_pk_add_f32 v[162:163], v[176:177], v[162:163]
	;; [unrolled: 7-line block ×4, first 2 shown]
	ds_write2_b64 v135, v[138:139], v[162:163] offset0:4 offset1:5
	v_pk_fma_f32 v[138:139], v[60:61], s[14:15], v[98:99] neg_lo:[1,0,0] neg_hi:[1,0,0]
	v_pk_fma_f32 v[162:163], v[60:61], s[14:15], v[98:99]
	v_pk_fma_f32 v[184:185], v[58:59], s[22:23], v[96:97] neg_lo:[1,0,0] neg_hi:[1,0,0]
	v_mov_b32_e32 v139, v163
	v_mov_b32_e32 v185, v189
	v_pk_add_f32 v[138:139], v[56:57], v[138:139]
	v_pk_fma_f32 v[98:99], v[60:61], s[14:15], v[98:99] neg_lo:[0,0,1] neg_hi:[0,0,1]
	v_pk_add_f32 v[138:139], v[184:185], v[138:139]
	v_pk_fma_f32 v[184:185], v[70:71], s[12:13], v[94:95] neg_lo:[1,0,0] neg_hi:[1,0,0]
	v_pk_fma_f32 v[94:95], v[70:71], s[12:13], v[94:95] neg_lo:[0,0,1] neg_hi:[0,0,1]
	v_mov_b32_e32 v185, v191
	v_pk_add_f32 v[138:139], v[184:185], v[138:139]
	v_pk_fma_f32 v[184:185], v[76:77], s[44:45], v[100:101] neg_lo:[1,0,0] neg_hi:[1,0,0]
	v_mov_b32_e32 v191, v95
	v_mov_b32_e32 v185, v193
	v_pk_add_f32 v[138:139], v[184:185], v[138:139]
	v_pk_fma_f32 v[184:185], v[82:83], s[10:11], v[102:103] neg_lo:[1,0,0] neg_hi:[1,0,0]
	v_pk_fma_f32 v[94:95], v[76:77], s[44:45], v[100:101] neg_lo:[0,0,1] neg_hi:[0,0,1]
	v_mov_b32_e32 v185, v195
	v_mov_b32_e32 v193, v95
	v_pk_fma_f32 v[94:95], v[82:83], s[10:11], v[102:103] neg_lo:[0,0,1] neg_hi:[0,0,1]
	v_pk_add_f32 v[138:139], v[184:185], v[138:139]
	v_pk_fma_f32 v[184:185], v[88:89], s[20:21], v[104:105] neg_lo:[1,0,0] neg_hi:[1,0,0]
	v_mov_b32_e32 v163, v99
	v_pk_fma_f32 v[96:97], v[58:59], s[22:23], v[96:97] neg_lo:[0,0,1] neg_hi:[0,0,1]
	v_mov_b32_e32 v195, v95
	;; [unrolled: 2-line block ×3, first 2 shown]
	v_mov_b32_e32 v189, v97
	v_mov_b32_e32 v197, v95
	v_pk_add_f32 v[94:95], v[56:57], v[162:163]
	v_pk_add_f32 v[138:139], v[184:185], v[138:139]
	;; [unrolled: 1-line block ×3, first 2 shown]
	v_pk_fma_f32 v[96:97], v[60:61], s[10:11], v[136:137] neg_lo:[0,0,1] neg_hi:[0,0,1]
	v_pk_add_f32 v[94:95], v[190:191], v[94:95]
	v_mov_b32_e32 v131, v97
	v_pk_add_f32 v[94:95], v[192:193], v[94:95]
	v_pk_fma_f32 v[96:97], v[58:59], s[18:19], v[140:141] neg_lo:[0,0,1] neg_hi:[0,0,1]
	v_pk_add_f32 v[94:95], v[194:195], v[94:95]
	v_mov_b32_e32 v145, v97
	v_pk_add_f32 v[94:95], v[196:197], v[94:95]
	ds_write2_b64 v135, v[138:139], v[94:95] offset0:6 offset1:7
	v_pk_fma_f32 v[94:95], v[60:61], s[12:13], v[158:159] neg_lo:[0,0,1] neg_hi:[0,0,1]
	v_pk_fma_f32 v[96:97], v[70:71], s[22:23], v[142:143] neg_lo:[0,0,1] neg_hi:[0,0,1]
	v_mov_b32_e32 v165, v95
	v_pk_fma_f32 v[94:95], v[58:59], s[20:21], v[166:167] neg_lo:[0,0,1] neg_hi:[0,0,1]
	v_mov_b32_e32 v149, v97
	v_mov_b32_e32 v171, v95
	v_pk_fma_f32 v[94:95], v[70:71], s[6:7], v[168:169] neg_lo:[0,0,1] neg_hi:[0,0,1]
	v_pk_fma_f32 v[96:97], v[76:77], s[8:9], v[146:147] neg_lo:[0,0,1] neg_hi:[0,0,1]
	v_mov_b32_e32 v175, v95
	v_pk_fma_f32 v[94:95], v[76:77], s[42:43], v[172:173] neg_lo:[0,0,1] neg_hi:[0,0,1]
	v_mov_b32_e32 v153, v97
	v_mov_b32_e32 v179, v95
	v_pk_fma_f32 v[94:95], v[82:83], s[22:23], v[176:177] neg_lo:[0,0,1] neg_hi:[0,0,1]
	v_pk_fma_f32 v[96:97], v[82:83], s[42:43], v[150:151] neg_lo:[0,0,1] neg_hi:[0,0,1]
	v_mov_b32_e32 v183, v95
	v_pk_fma_f32 v[94:95], v[88:89], s[10:11], v[180:181] neg_lo:[0,0,1] neg_hi:[0,0,1]
	v_mov_b32_e32 v157, v97
	;; [unrolled: 2-line block ×3, first 2 shown]
	v_pk_add_f32 v[94:95], v[56:57], v[164:165]
	v_mov_b32_e32 v161, v97
	v_pk_add_f32 v[96:97], v[56:57], v[130:131]
	v_pk_add_f32 v[94:95], v[170:171], v[94:95]
	;; [unrolled: 1-line block ×11, first 2 shown]
	ds_write2_b64 v135, v[94:95], v[96:97] offset0:8 offset1:9
	v_pk_fma_f32 v[94:95], v[60:61], s[8:9], v[110:111] neg_lo:[0,0,1] neg_hi:[0,0,1]
	v_mov_b32_e32 v19, v11
	v_mov_b32_e32 v107, v95
	v_pk_fma_f32 v[94:95], v[58:59], s[14:15], v[112:113] neg_lo:[0,0,1] neg_hi:[0,0,1]
	v_pk_fma_f32 v[10:11], v[76:77], s[18:19], v[34:35] neg_lo:[0,0,1] neg_hi:[0,0,1]
	v_mov_b32_e32 v109, v95
	v_pk_fma_f32 v[94:95], v[70:71], s[34:35], v[120:121] neg_lo:[0,0,1] neg_hi:[0,0,1]
	v_pk_add_f32 v[2:3], v[6:7], v[2:3]
	v_mov_b32_e32 v115, v95
	v_pk_fma_f32 v[94:95], v[76:77], s[22:23], v[124:125] neg_lo:[0,0,1] neg_hi:[0,0,1]
	v_mov_b32_e32 v23, v11
	v_mov_b32_e32 v117, v95
	v_pk_fma_f32 v[94:95], v[82:83], s[6:7], v[126:127] neg_lo:[0,0,1] neg_hi:[0,0,1]
	v_pk_fma_f32 v[10:11], v[82:83], s[20:21], v[38:39] neg_lo:[0,0,1] neg_hi:[0,0,1]
	v_mov_b32_e32 v119, v95
	v_pk_fma_f32 v[94:95], v[88:89], s[12:13], v[128:129] neg_lo:[0,0,1] neg_hi:[0,0,1]
	v_pk_add_f32 v[2:3], v[18:19], v[2:3]
	v_mov_b32_e32 v123, v95
	v_pk_add_f32 v[94:95], v[56:57], v[106:107]
	v_mov_b32_e32 v31, v11
	v_pk_add_f32 v[94:95], v[108:109], v[94:95]
	v_pk_fma_f32 v[10:11], v[88:89], s[22:23], v[46:47] neg_lo:[0,0,1] neg_hi:[0,0,1]
	v_pk_add_f32 v[94:95], v[114:115], v[94:95]
	v_pk_add_f32 v[2:3], v[22:23], v[2:3]
	v_pk_add_f32 v[94:95], v[116:117], v[94:95]
	v_mov_b32_e32 v43, v11
	v_pk_add_f32 v[94:95], v[118:119], v[94:95]
	v_pk_add_f32 v[2:3], v[30:31], v[2:3]
	;; [unrolled: 1-line block ×4, first 2 shown]
	ds_write2_b64 v135, v[94:95], v[2:3] offset0:10 offset1:11
	v_pk_fma_f32 v[2:3], v[60:61], s[2:3], v[64:65] neg_lo:[0,0,1] neg_hi:[0,0,1]
	v_pk_fma_f32 v[6:7], v[58:59], s[6:7], v[68:69] neg_lo:[0,0,1] neg_hi:[0,0,1]
	v_mov_b32_e32 v63, v3
	v_pk_add_f32 v[2:3], v[56:57], v[62:63]
	v_mov_b32_e32 v67, v7
	v_pk_fma_f32 v[6:7], v[70:71], s[8:9], v[72:73] neg_lo:[0,0,1] neg_hi:[0,0,1]
	v_pk_add_f32 v[2:3], v[66:67], v[2:3]
	v_mov_b32_e32 v75, v7
	v_pk_fma_f32 v[6:7], v[76:77], s[10:11], v[80:81] neg_lo:[0,0,1] neg_hi:[0,0,1]
	;; [unrolled: 3-line block ×4, first 2 shown]
	v_pk_add_f32 v[2:3], v[86:87], v[2:3]
	v_mov_b32_e32 v91, v7
	v_pk_add_f32 v[2:3], v[90:91], v[2:3]
	ds_write_b64 v135, v[2:3] offset:96
	s_and_saveexec_b64 s[54:55], s[0:1]
	s_cbranch_execz .LBB0_19
; %bb.18:
	v_pk_add_f32 v[26:27], v[16:17], v[54:55] neg_lo:[0,1] neg_hi:[0,1]
	v_pk_add_f32 v[22:23], v[54:55], v[16:17]
	v_pk_add_f32 v[16:17], v[0:1], v[16:17]
	v_pk_add_f32 v[38:39], v[32:33], v[4:5] neg_lo:[0,1] neg_hi:[0,1]
	v_pk_add_f32 v[16:17], v[16:17], v[20:21]
	v_pk_add_f32 v[10:11], v[4:5], v[32:33]
	;; [unrolled: 1-line block ×3, first 2 shown]
	v_mov_b32_e32 v68, v22
	v_pk_add_f32 v[16:17], v[16:17], v[32:33]
	v_mov_b32_e32 v69, v26
	v_pk_add_f32 v[16:17], v[16:17], v[40:41]
	v_pk_add_f32 v[42:43], v[40:41], v[24:25] neg_lo:[0,1] neg_hi:[0,1]
	v_pk_add_f32 v[16:17], v[16:17], v[44:45]
	v_pk_add_f32 v[6:7], v[24:25], v[40:41]
	;; [unrolled: 1-line block ×3, first 2 shown]
	v_mov_b32_e32 v22, v27
	v_pk_add_f32 v[16:17], v[16:17], v[24:25]
	v_pk_add_f32 v[30:31], v[20:21], v[12:13] neg_lo:[0,1] neg_hi:[0,1]
	v_pk_add_f32 v[4:5], v[16:17], v[4:5]
	v_pk_add_f32 v[18:19], v[12:13], v[20:21]
	;; [unrolled: 1-line block ×3, first 2 shown]
	v_pk_add_f32 v[34:35], v[28:29], v[8:9] neg_lo:[0,1] neg_hi:[0,1]
	v_pk_add_f32 v[4:5], v[4:5], v[12:13]
	v_pk_add_f32 v[14:15], v[8:9], v[28:29]
	;; [unrolled: 1-line block ×3, first 2 shown]
	v_pk_mul_f32 v[4:5], v[68:69], s[38:39]
	v_mov_b32_e32 v70, v18
	v_pk_fma_f32 v[12:13], v[22:23], s[2:3], v[4:5] neg_lo:[1,0,0] neg_hi:[1,0,0]
	v_pk_fma_f32 v[8:9], v[22:23], s[2:3], v[4:5]
	v_mov_b32_e32 v71, v30
	v_mov_b32_e32 v13, v9
	v_pk_add_f32 v[20:21], v[0:1], v[12:13]
	v_pk_mul_f32 v[12:13], v[70:71], s[16:17]
	v_mov_b32_e32 v18, v31
	v_pk_fma_f32 v[24:25], v[18:19], s[6:7], v[12:13] neg_lo:[1,0,0] neg_hi:[1,0,0]
	v_pk_fma_f32 v[16:17], v[18:19], s[6:7], v[12:13]
	v_mov_b32_e32 v72, v14
	v_mov_b32_e32 v25, v17
	v_mov_b32_e32 v73, v34
	v_pk_add_f32 v[26:27], v[24:25], v[20:21]
	v_pk_mul_f32 v[20:21], v[72:73], s[28:29]
	v_mov_b32_e32 v14, v35
	v_pk_fma_f32 v[28:29], v[14:15], s[8:9], v[20:21] neg_lo:[1,0,0] neg_hi:[1,0,0]
	v_pk_fma_f32 v[24:25], v[14:15], s[8:9], v[20:21]
	v_mov_b32_e32 v74, v10
	;; [unrolled: 8-line block ×3, first 2 shown]
	v_mov_b32_e32 v33, v29
	v_mov_b32_e32 v77, v42
	v_pk_add_f32 v[34:35], v[32:33], v[30:31]
	v_pk_mul_f32 v[30:31], v[76:77], s[26:27]
	v_mov_b32_e32 v6, v43
	v_pk_add_f32 v[46:47], v[44:45], v[36:37] neg_lo:[0,1] neg_hi:[0,1]
	v_pk_add_f32 v[2:3], v[36:37], v[44:45]
	v_pk_fma_f32 v[36:37], v[6:7], s[12:13], v[30:31] neg_lo:[1,0,0] neg_hi:[1,0,0]
	v_pk_fma_f32 v[32:33], v[6:7], s[12:13], v[30:31]
	v_mov_b32_e32 v78, v2
	v_mov_b32_e32 v37, v33
	;; [unrolled: 1-line block ×3, first 2 shown]
	v_pk_add_f32 v[38:39], v[36:37], v[34:35]
	v_pk_mul_f32 v[34:35], v[78:79], s[30:31]
	v_mov_b32_e32 v2, v47
	v_pk_fma_f32 v[42:43], v[2:3], s[14:15], v[34:35] neg_lo:[1,0,0] neg_hi:[1,0,0]
	v_pk_fma_f32 v[36:37], v[2:3], s[14:15], v[34:35]
	v_pk_mul_f32 v[44:45], v[70:71], s[24:25]
	v_mov_b32_e32 v43, v37
	v_pk_add_f32 v[38:39], v[42:43], v[38:39]
	ds_write2_b64 v132, v[40:41], v[38:39] offset0:169 offset1:170
	v_pk_mul_f32 v[40:41], v[68:69], s[16:17]
	v_pk_fma_f32 v[54:55], v[18:19], s[10:11], v[44:45] neg_lo:[1,0,0] neg_hi:[1,0,0]
	v_pk_fma_f32 v[42:43], v[22:23], s[6:7], v[40:41] neg_lo:[1,0,0] neg_hi:[1,0,0]
	v_pk_fma_f32 v[38:39], v[22:23], s[6:7], v[40:41]
	v_pk_mul_f32 v[88:89], v[70:71], s[30:31]
	v_mov_b32_e32 v43, v39
	v_pk_add_f32 v[46:47], v[0:1], v[42:43]
	v_pk_fma_f32 v[42:43], v[18:19], s[10:11], v[44:45]
	v_pk_fma_f32 v[90:91], v[18:19], s[14:15], v[88:89] neg_lo:[1,0,0] neg_hi:[1,0,0]
	v_mov_b32_e32 v55, v43
	v_pk_add_f32 v[56:57], v[54:55], v[46:47]
	v_pk_mul_f32 v[54:55], v[72:73], s[30:31]
	v_pk_fma_f32 v[92:93], v[18:19], s[14:15], v[88:89]
	v_pk_fma_f32 v[58:59], v[14:15], s[14:15], v[54:55] neg_lo:[1,0,0] neg_hi:[1,0,0]
	v_pk_fma_f32 v[46:47], v[14:15], s[14:15], v[54:55]
	v_mov_b32_e32 v91, v93
	v_mov_b32_e32 v59, v47
	v_pk_add_f32 v[60:61], v[58:59], v[56:57]
	v_pk_mul_f32 v[58:59], v[74:75], s[46:47]
	v_pk_mul_f32 v[110:111], v[70:71], s[46:47]
	v_pk_fma_f32 v[62:63], v[10:11], s[18:19], v[58:59] neg_lo:[1,0,0] neg_hi:[1,0,0]
	v_pk_fma_f32 v[56:57], v[10:11], s[18:19], v[58:59]
	v_pk_fma_f32 v[112:113], v[18:19], s[18:19], v[110:111] neg_lo:[1,0,0] neg_hi:[1,0,0]
	v_mov_b32_e32 v63, v57
	v_pk_add_f32 v[64:65], v[62:63], v[60:61]
	v_pk_mul_f32 v[62:63], v[76:77], s[36:37]
	v_pk_fma_f32 v[114:115], v[18:19], s[18:19], v[110:111]
	v_pk_fma_f32 v[66:67], v[6:7], s[20:21], v[62:63] neg_lo:[1,0,0] neg_hi:[1,0,0]
	v_pk_fma_f32 v[60:61], v[6:7], s[20:21], v[62:63]
	v_mov_b32_e32 v113, v115
	v_mov_b32_e32 v67, v61
	v_pk_add_f32 v[80:81], v[66:67], v[64:65]
	v_pk_mul_f32 v[66:67], v[78:79], s[40:41]
	v_pk_mul_f32 v[140:141], v[70:71], s[36:37]
	v_pk_fma_f32 v[82:83], v[2:3], s[22:23], v[66:67] neg_lo:[1,0,0] neg_hi:[1,0,0]
	v_pk_fma_f32 v[64:65], v[2:3], s[22:23], v[66:67]
	v_pk_fma_f32 v[142:143], v[18:19], s[20:21], v[140:141] neg_lo:[1,0,0] neg_hi:[1,0,0]
	v_mov_b32_e32 v83, v65
	v_pk_add_f32 v[80:81], v[82:83], v[80:81]
	v_pk_mul_f32 v[82:83], v[68:69], s[28:29]
	v_pk_fma_f32 v[144:145], v[18:19], s[20:21], v[140:141]
	v_pk_fma_f32 v[84:85], v[22:23], s[8:9], v[82:83] neg_lo:[1,0,0] neg_hi:[1,0,0]
	v_pk_fma_f32 v[86:87], v[22:23], s[8:9], v[82:83]
	v_mov_b32_e32 v143, v145
	v_mov_b32_e32 v85, v87
	v_pk_add_f32 v[84:85], v[0:1], v[84:85]
	v_pk_mul_f32 v[70:71], v[70:71], s[40:41]
	v_pk_add_f32 v[84:85], v[90:91], v[84:85]
	v_pk_mul_f32 v[90:91], v[72:73], s[52:53]
	v_pk_fma_f32 v[162:163], v[18:19], s[22:23], v[70:71]
	v_pk_fma_f32 v[94:95], v[14:15], s[34:35], v[90:91] neg_lo:[1,0,0] neg_hi:[1,0,0]
	v_pk_fma_f32 v[96:97], v[14:15], s[34:35], v[90:91]
	v_pk_fma_f32 v[40:41], v[22:23], s[6:7], v[40:41] neg_lo:[0,0,1] neg_hi:[0,0,1]
	v_mov_b32_e32 v95, v97
	v_pk_add_f32 v[84:85], v[94:95], v[84:85]
	v_pk_mul_f32 v[94:95], v[74:75], s[40:41]
	v_pk_fma_f32 v[4:5], v[22:23], s[2:3], v[4:5] neg_lo:[0,0,1] neg_hi:[0,0,1]
	v_pk_fma_f32 v[98:99], v[10:11], s[22:23], v[94:95] neg_lo:[1,0,0] neg_hi:[1,0,0]
	v_pk_fma_f32 v[100:101], v[10:11], s[22:23], v[94:95]
	v_mov_b32_e32 v39, v41
	v_mov_b32_e32 v99, v101
	v_pk_add_f32 v[84:85], v[98:99], v[84:85]
	v_pk_mul_f32 v[98:99], v[76:77], s[16:17]
	v_pk_fma_f32 v[40:41], v[18:19], s[10:11], v[44:45] neg_lo:[0,0,1] neg_hi:[0,0,1]
	v_pk_fma_f32 v[102:103], v[6:7], s[6:7], v[98:99] neg_lo:[1,0,0] neg_hi:[1,0,0]
	v_pk_fma_f32 v[104:105], v[6:7], s[6:7], v[98:99]
	v_mov_b32_e32 v9, v5
	v_mov_b32_e32 v103, v105
	v_pk_add_f32 v[84:85], v[102:103], v[84:85]
	v_pk_mul_f32 v[102:103], v[78:79], s[26:27]
	v_pk_fma_f32 v[4:5], v[18:19], s[6:7], v[12:13] neg_lo:[0,0,1] neg_hi:[0,0,1]
	v_pk_fma_f32 v[106:107], v[2:3], s[12:13], v[102:103] neg_lo:[1,0,0] neg_hi:[1,0,0]
	v_pk_fma_f32 v[108:109], v[2:3], s[12:13], v[102:103]
	v_pk_add_f32 v[38:39], v[0:1], v[38:39]
	v_mov_b32_e32 v107, v109
	v_pk_add_f32 v[84:85], v[106:107], v[84:85]
	ds_write2_b64 v132, v[80:81], v[84:85] offset0:171 offset1:172
	v_pk_mul_f32 v[80:81], v[68:69], s[24:25]
	v_mov_b32_e32 v43, v41
	v_pk_fma_f32 v[84:85], v[22:23], s[10:11], v[80:81] neg_lo:[1,0,0] neg_hi:[1,0,0]
	v_pk_fma_f32 v[106:107], v[22:23], s[10:11], v[80:81]
	v_pk_fma_f32 v[40:41], v[14:15], s[14:15], v[54:55] neg_lo:[0,0,1] neg_hi:[0,0,1]
	v_mov_b32_e32 v85, v107
	v_pk_add_f32 v[84:85], v[0:1], v[84:85]
	v_mov_b32_e32 v17, v5
	v_pk_add_f32 v[84:85], v[112:113], v[84:85]
	v_pk_mul_f32 v[112:113], v[72:73], s[40:41]
	v_pk_fma_f32 v[4:5], v[14:15], s[8:9], v[20:21] neg_lo:[0,0,1] neg_hi:[0,0,1]
	v_pk_fma_f32 v[116:117], v[14:15], s[22:23], v[112:113] neg_lo:[1,0,0] neg_hi:[1,0,0]
	v_pk_fma_f32 v[118:119], v[14:15], s[22:23], v[112:113]
	v_pk_add_f32 v[38:39], v[42:43], v[38:39]
	v_mov_b32_e32 v117, v119
	v_pk_add_f32 v[84:85], v[116:117], v[84:85]
	v_pk_mul_f32 v[116:117], v[74:75], s[28:29]
	v_mov_b32_e32 v47, v41
	v_pk_fma_f32 v[120:121], v[10:11], s[8:9], v[116:117] neg_lo:[1,0,0] neg_hi:[1,0,0]
	v_pk_fma_f32 v[122:123], v[10:11], s[8:9], v[116:117]
	v_pk_fma_f32 v[40:41], v[10:11], s[18:19], v[58:59] neg_lo:[0,0,1] neg_hi:[0,0,1]
	v_mov_b32_e32 v121, v123
	v_pk_add_f32 v[84:85], v[120:121], v[84:85]
	v_pk_mul_f32 v[120:121], v[76:77], s[50:51]
	v_mov_b32_e32 v25, v5
	v_pk_fma_f32 v[124:125], v[6:7], s[42:43], v[120:121] neg_lo:[1,0,0] neg_hi:[1,0,0]
	v_pk_fma_f32 v[126:127], v[6:7], s[42:43], v[120:121]
	v_pk_fma_f32 v[4:5], v[10:11], s[10:11], v[26:27] neg_lo:[0,0,1] neg_hi:[0,0,1]
	v_mov_b32_e32 v125, v127
	v_pk_add_f32 v[84:85], v[124:125], v[84:85]
	v_pk_mul_f32 v[124:125], v[78:79], s[48:49]
	v_pk_add_f32 v[38:39], v[46:47], v[38:39]
	v_pk_fma_f32 v[128:129], v[2:3], s[44:45], v[124:125] neg_lo:[1,0,0] neg_hi:[1,0,0]
	v_pk_fma_f32 v[130:131], v[2:3], s[44:45], v[124:125]
	v_mov_b32_e32 v57, v41
	v_mov_b32_e32 v129, v131
	v_pk_add_f32 v[84:85], v[128:129], v[84:85]
	v_pk_mul_f32 v[128:129], v[68:69], s[26:27]
	v_pk_mul_f32 v[68:69], v[68:69], s[30:31]
	v_pk_fma_f32 v[136:137], v[22:23], s[12:13], v[128:129] neg_lo:[1,0,0] neg_hi:[1,0,0]
	v_pk_fma_f32 v[138:139], v[22:23], s[12:13], v[128:129]
	v_pk_fma_f32 v[40:41], v[6:7], s[20:21], v[62:63] neg_lo:[0,0,1] neg_hi:[0,0,1]
	v_mov_b32_e32 v137, v139
	v_pk_add_f32 v[136:137], v[0:1], v[136:137]
	v_mov_b32_e32 v29, v5
	v_pk_add_f32 v[136:137], v[142:143], v[136:137]
	v_pk_mul_f32 v[142:143], v[72:73], s[16:17]
	v_pk_mul_f32 v[72:73], v[72:73], s[26:27]
	v_pk_fma_f32 v[146:147], v[14:15], s[6:7], v[142:143] neg_lo:[1,0,0] neg_hi:[1,0,0]
	v_pk_fma_f32 v[148:149], v[14:15], s[6:7], v[142:143]
	v_pk_fma_f32 v[164:165], v[14:15], s[12:13], v[72:73]
	v_mov_b32_e32 v147, v149
	v_pk_add_f32 v[136:137], v[146:147], v[136:137]
	v_pk_mul_f32 v[146:147], v[74:75], s[50:51]
	v_pk_mul_f32 v[74:75], v[74:75], s[48:49]
	v_pk_fma_f32 v[150:151], v[10:11], s[42:43], v[146:147] neg_lo:[1,0,0] neg_hi:[1,0,0]
	v_pk_fma_f32 v[152:153], v[10:11], s[42:43], v[146:147]
	v_pk_fma_f32 v[166:167], v[10:11], s[44:45], v[74:75]
	;; [unrolled: 7-line block ×4, first 2 shown]
	v_mov_b32_e32 v159, v161
	v_pk_add_f32 v[136:137], v[158:159], v[136:137]
	ds_write2_b64 v132, v[84:85], v[136:137] offset0:173 offset1:174
	v_pk_fma_f32 v[84:85], v[22:23], s[14:15], v[68:69] neg_lo:[1,0,0] neg_hi:[1,0,0]
	v_pk_fma_f32 v[136:137], v[22:23], s[14:15], v[68:69]
	v_pk_fma_f32 v[158:159], v[18:19], s[22:23], v[70:71] neg_lo:[1,0,0] neg_hi:[1,0,0]
	v_mov_b32_e32 v85, v137
	v_pk_add_f32 v[84:85], v[0:1], v[84:85]
	v_mov_b32_e32 v159, v163
	v_pk_add_f32 v[84:85], v[158:159], v[84:85]
	v_pk_fma_f32 v[158:159], v[14:15], s[12:13], v[72:73] neg_lo:[1,0,0] neg_hi:[1,0,0]
	v_pk_fma_f32 v[70:71], v[18:19], s[22:23], v[70:71] neg_lo:[0,0,1] neg_hi:[0,0,1]
	v_mov_b32_e32 v159, v165
	v_pk_add_f32 v[84:85], v[158:159], v[84:85]
	v_pk_fma_f32 v[158:159], v[10:11], s[44:45], v[74:75] neg_lo:[1,0,0] neg_hi:[1,0,0]
	v_mov_b32_e32 v163, v71
	v_mov_b32_e32 v159, v167
	v_pk_fma_f32 v[70:71], v[14:15], s[12:13], v[72:73] neg_lo:[0,0,1] neg_hi:[0,0,1]
	v_pk_add_f32 v[84:85], v[158:159], v[84:85]
	v_pk_fma_f32 v[158:159], v[6:7], s[10:11], v[76:77] neg_lo:[1,0,0] neg_hi:[1,0,0]
	v_pk_fma_f32 v[68:69], v[22:23], s[14:15], v[68:69] neg_lo:[0,0,1] neg_hi:[0,0,1]
	v_mov_b32_e32 v165, v71
	v_pk_fma_f32 v[70:71], v[10:11], s[44:45], v[74:75] neg_lo:[0,0,1] neg_hi:[0,0,1]
	v_mov_b32_e32 v159, v169
	v_mov_b32_e32 v137, v69
	;; [unrolled: 1-line block ×3, first 2 shown]
	v_pk_fma_f32 v[70:71], v[6:7], s[10:11], v[76:77] neg_lo:[0,0,1] neg_hi:[0,0,1]
	v_pk_add_f32 v[84:85], v[158:159], v[84:85]
	v_pk_fma_f32 v[158:159], v[2:3], s[20:21], v[78:79] neg_lo:[1,0,0] neg_hi:[1,0,0]
	v_pk_add_f32 v[68:69], v[0:1], v[136:137]
	v_mov_b32_e32 v169, v71
	v_pk_fma_f32 v[70:71], v[2:3], s[20:21], v[78:79] neg_lo:[0,0,1] neg_hi:[0,0,1]
	v_mov_b32_e32 v159, v171
	v_pk_add_f32 v[68:69], v[162:163], v[68:69]
	v_mov_b32_e32 v171, v71
	v_pk_fma_f32 v[70:71], v[18:19], s[20:21], v[140:141] neg_lo:[0,0,1] neg_hi:[0,0,1]
	v_pk_add_f32 v[68:69], v[164:165], v[68:69]
	v_mov_b32_e32 v145, v71
	v_pk_fma_f32 v[70:71], v[14:15], s[6:7], v[142:143] neg_lo:[0,0,1] neg_hi:[0,0,1]
	;; [unrolled: 3-line block ×4, first 2 shown]
	v_pk_add_f32 v[84:85], v[158:159], v[84:85]
	v_pk_add_f32 v[68:69], v[170:171], v[68:69]
	v_mov_b32_e32 v157, v71
	v_pk_fma_f32 v[70:71], v[2:3], s[10:11], v[154:155] neg_lo:[0,0,1] neg_hi:[0,0,1]
	ds_write2_b64 v132, v[84:85], v[68:69] offset0:175 offset1:176
	v_pk_fma_f32 v[68:69], v[22:23], s[12:13], v[128:129] neg_lo:[0,0,1] neg_hi:[0,0,1]
	v_mov_b32_e32 v161, v71
	v_pk_fma_f32 v[70:71], v[22:23], s[10:11], v[80:81] neg_lo:[0,0,1] neg_hi:[0,0,1]
	v_mov_b32_e32 v139, v69
	v_mov_b32_e32 v107, v71
	v_pk_fma_f32 v[72:73], v[18:19], s[18:19], v[110:111] neg_lo:[0,0,1] neg_hi:[0,0,1]
	v_pk_add_f32 v[68:69], v[0:1], v[138:139]
	v_pk_add_f32 v[70:71], v[0:1], v[106:107]
	v_mov_b32_e32 v115, v73
	v_pk_fma_f32 v[72:73], v[14:15], s[22:23], v[112:113] neg_lo:[0,0,1] neg_hi:[0,0,1]
	v_pk_add_f32 v[68:69], v[144:145], v[68:69]
	v_pk_add_f32 v[70:71], v[114:115], v[70:71]
	;; [unrolled: 4-line block ×5, first 2 shown]
	v_mov_b32_e32 v131, v73
	v_pk_add_f32 v[68:69], v[160:161], v[68:69]
	v_pk_add_f32 v[70:71], v[130:131], v[70:71]
	ds_write2_b64 v132, v[68:69], v[70:71] offset0:177 offset1:178
	v_pk_fma_f32 v[68:69], v[22:23], s[8:9], v[82:83] neg_lo:[0,0,1] neg_hi:[0,0,1]
	v_pk_fma_f32 v[70:71], v[18:19], s[14:15], v[88:89] neg_lo:[0,0,1] neg_hi:[0,0,1]
	v_mov_b32_e32 v87, v69
	v_pk_add_f32 v[68:69], v[0:1], v[86:87]
	v_mov_b32_e32 v93, v71
	v_pk_fma_f32 v[70:71], v[14:15], s[34:35], v[90:91] neg_lo:[0,0,1] neg_hi:[0,0,1]
	v_pk_add_f32 v[0:1], v[0:1], v[8:9]
	v_pk_add_f32 v[68:69], v[92:93], v[68:69]
	v_mov_b32_e32 v97, v71
	v_pk_fma_f32 v[70:71], v[10:11], s[22:23], v[94:95] neg_lo:[0,0,1] neg_hi:[0,0,1]
	v_pk_add_f32 v[0:1], v[16:17], v[0:1]
	;; [unrolled: 4-line block ×3, first 2 shown]
	v_pk_fma_f32 v[4:5], v[6:7], s[12:13], v[30:31] neg_lo:[0,0,1] neg_hi:[0,0,1]
	v_pk_add_f32 v[68:69], v[100:101], v[68:69]
	v_mov_b32_e32 v105, v71
	v_pk_fma_f32 v[70:71], v[2:3], s[12:13], v[102:103] neg_lo:[0,0,1] neg_hi:[0,0,1]
	v_pk_add_f32 v[38:39], v[56:57], v[38:39]
	v_mov_b32_e32 v61, v41
	;; [unrolled: 3-line block ×4, first 2 shown]
	v_pk_add_f32 v[38:39], v[60:61], v[38:39]
	v_mov_b32_e32 v65, v41
	v_pk_add_f32 v[0:1], v[32:33], v[0:1]
	v_mov_b32_e32 v37, v3
	v_pk_add_f32 v[68:69], v[108:109], v[68:69]
	v_pk_add_f32 v[38:39], v[64:65], v[38:39]
	;; [unrolled: 1-line block ×3, first 2 shown]
	ds_write2_b64 v132, v[68:69], v[38:39] offset0:179 offset1:180
	ds_write_b64 v132, v[0:1] offset:1448
.LBB0_19:
	s_or_b64 exec, exec, s[54:55]
	v_add_u16_e32 v0, 26, v50
	s_movk_i32 s0, 0x4f
	v_mul_lo_u16_sdwa v1, v0, s0 dst_sel:DWORD dst_unused:UNUSED_PAD src0_sel:BYTE_0 src1_sel:DWORD
	v_lshrrev_b16_e32 v1, 10, v1
	v_mul_lo_u16_e32 v1, 13, v1
	v_sub_u16_e32 v0, v0, v1
	v_add_u16_e32 v1, 39, v50
	v_mul_lo_u16_sdwa v2, v1, s0 dst_sel:DWORD dst_unused:UNUSED_PAD src0_sel:BYTE_0 src1_sel:DWORD
	v_lshrrev_b16_e32 v2, 10, v2
	v_mul_lo_u16_e32 v2, 13, v2
	v_sub_u16_e32 v1, v1, v2
	v_add_u16_e32 v2, 52, v50
	v_mul_lo_u16_sdwa v3, v2, s0 dst_sel:DWORD dst_unused:UNUSED_PAD src0_sel:BYTE_0 src1_sel:DWORD
	v_lshrrev_b16_e32 v3, 10, v3
	v_mul_lo_u16_e32 v3, 13, v3
	v_sub_u16_e32 v2, v2, v3
	v_mov_b32_e32 v3, 3
	v_lshlrev_b32_sdwa v40, v3, v2 dst_sel:DWORD dst_unused:UNUSED_PAD src0_sel:DWORD src1_sel:BYTE_0
	v_add_u16_e32 v2, 0x41, v50
	v_mul_lo_u16_sdwa v4, v2, s0 dst_sel:DWORD dst_unused:UNUSED_PAD src0_sel:BYTE_0 src1_sel:DWORD
	v_lshrrev_b16_e32 v4, 10, v4
	v_mul_lo_u16_e32 v4, 13, v4
	v_sub_u16_e32 v2, v2, v4
	v_lshlrev_b32_sdwa v41, v3, v2 dst_sel:DWORD dst_unused:UNUSED_PAD src0_sel:DWORD src1_sel:BYTE_0
	v_add_u16_e32 v2, 0x4e, v50
	s_waitcnt lgkmcnt(0)
	; wave barrier
	s_waitcnt lgkmcnt(0)
	global_load_dwordx2 v[24:25], v[52:53], off
	v_mul_lo_u16_sdwa v4, v2, s0 dst_sel:DWORD dst_unused:UNUSED_PAD src0_sel:BYTE_0 src1_sel:DWORD
	v_lshrrev_b16_e32 v4, 10, v4
	v_mul_lo_u16_e32 v4, 13, v4
	v_sub_u16_e32 v2, v2, v4
	v_lshlrev_b32_sdwa v44, v3, v1 dst_sel:DWORD dst_unused:UNUSED_PAD src0_sel:DWORD src1_sel:BYTE_0
	v_lshlrev_b32_sdwa v42, v3, v2 dst_sel:DWORD dst_unused:UNUSED_PAD src0_sel:DWORD src1_sel:BYTE_0
	global_load_dwordx2 v[26:27], v40, s[4:5]
	global_load_dwordx2 v[28:29], v41, s[4:5]
	;; [unrolled: 1-line block ×3, first 2 shown]
	v_lshlrev_b32_sdwa v43, v3, v0 dst_sel:DWORD dst_unused:UNUSED_PAD src0_sel:DWORD src1_sel:BYTE_0
	global_load_dwordx2 v[32:33], v44, s[4:5]
	global_load_dwordx2 v[34:35], v43, s[4:5]
	ds_read2_b64 v[0:3], v51 offset0:91 offset1:104
	ds_read2_b64 v[4:7], v51 offset0:117 offset1:130
	;; [unrolled: 1-line block ×4, first 2 shown]
	ds_read_b64 v[36:37], v133
	ds_read_b64 v[38:39], v51 offset:1352
	ds_read2_b64 v[16:19], v51 offset0:143 offset1:156
	ds_read2_b64 v[20:23], v51 offset0:39 offset1:52
	v_add3_u32 v56, 0, v40, v134
	v_add3_u32 v57, 0, v41, v134
	;; [unrolled: 1-line block ×5, first 2 shown]
	s_waitcnt lgkmcnt(0)
	; wave barrier
	s_waitcnt lgkmcnt(0)
	s_mov_b32 s2, 0x3eae86e6
	s_mov_b32 s3, 0xbf08b237
	;; [unrolled: 1-line block ×10, first 2 shown]
	s_waitcnt vmcnt(5)
	v_pk_mul_f32 v[40:41], v[24:25], v[0:1] op_sel:[0,1]
	v_pk_mul_f32 v[42:43], v[24:25], v[2:3] op_sel:[0,1]
	v_pk_fma_f32 v[44:45], v[24:25], v[0:1], v[40:41] op_sel:[0,0,1] op_sel_hi:[1,1,0] neg_lo:[0,0,1] neg_hi:[0,0,1]
	v_pk_fma_f32 v[0:1], v[24:25], v[0:1], v[40:41] op_sel:[0,0,1] op_sel_hi:[1,0,0]
	v_pk_fma_f32 v[40:41], v[24:25], v[2:3], v[42:43] op_sel:[0,0,1] op_sel_hi:[1,1,0] neg_lo:[0,0,1] neg_hi:[0,0,1]
	v_pk_fma_f32 v[2:3], v[24:25], v[2:3], v[42:43] op_sel:[0,0,1] op_sel_hi:[1,0,0]
	v_mov_b32_e32 v45, v1
	v_mov_b32_e32 v41, v3
	v_pk_add_f32 v[0:1], v[36:37], v[44:45] neg_lo:[0,1] neg_hi:[0,1]
	v_pk_add_f32 v[2:3], v[8:9], v[40:41] neg_lo:[0,1] neg_hi:[0,1]
	v_pk_fma_f32 v[24:25], v[36:37], 2.0, v[0:1] op_sel_hi:[1,0,1] neg_lo:[0,0,1] neg_hi:[0,0,1]
	s_waitcnt vmcnt(2)
	v_pk_mul_f32 v[36:37], v[38:39], v[30:31] op_sel:[0,1]
	v_pk_mul_f32 v[40:41], v[18:19], v[28:29] op_sel:[0,1]
	;; [unrolled: 1-line block ×3, first 2 shown]
	s_waitcnt vmcnt(1)
	v_pk_mul_f32 v[44:45], v[32:33], v[6:7] op_sel:[0,1]
	s_waitcnt vmcnt(0)
	v_pk_mul_f32 v[46:47], v[34:35], v[4:5] op_sel:[0,1]
	v_pk_fma_f32 v[52:53], v[38:39], v[30:31], v[36:37] op_sel:[0,0,1] op_sel_hi:[1,1,0] neg_lo:[0,0,1] neg_hi:[0,0,1]
	v_pk_fma_f32 v[30:31], v[38:39], v[30:31], v[36:37] op_sel:[0,0,1] op_sel_hi:[1,0,0]
	v_pk_fma_f32 v[36:37], v[18:19], v[28:29], v[40:41] op_sel:[0,0,1] op_sel_hi:[1,1,0] neg_lo:[0,0,1] neg_hi:[0,0,1]
	v_pk_fma_f32 v[18:19], v[18:19], v[28:29], v[40:41] op_sel:[0,0,1] op_sel_hi:[1,0,0]
	;; [unrolled: 2-line block ×5, first 2 shown]
	v_mov_b32_e32 v53, v31
	v_mov_b32_e32 v37, v19
	;; [unrolled: 1-line block ×5, first 2 shown]
	v_pk_add_f32 v[6:7], v[14:15], v[52:53] neg_lo:[0,1] neg_hi:[0,1]
	v_pk_add_f32 v[16:17], v[12:13], v[36:37] neg_lo:[0,1] neg_hi:[0,1]
	;; [unrolled: 1-line block ×5, first 2 shown]
	v_pk_fma_f32 v[8:9], v[8:9], 2.0, v[2:3] op_sel_hi:[1,0,1] neg_lo:[0,0,1] neg_hi:[0,0,1]
	v_pk_fma_f32 v[14:15], v[14:15], 2.0, v[6:7] op_sel_hi:[1,0,1] neg_lo:[0,0,1] neg_hi:[0,0,1]
	;; [unrolled: 1-line block ×6, first 2 shown]
	ds_write2_b64 v51, v[24:25], v[0:1] offset1:13
	ds_write2_b64 v51, v[8:9], v[2:3] offset0:26 offset1:39
	ds_write2_b64 v54, v[10:11], v[4:5] offset0:52 offset1:65
	;; [unrolled: 1-line block ×6, first 2 shown]
	v_mul_u32_u24_e32 v0, 6, v50
	v_lshlrev_b32_e32 v0, 3, v0
	s_waitcnt lgkmcnt(0)
	; wave barrier
	s_waitcnt lgkmcnt(0)
	global_load_dwordx4 v[4:7], v0, s[4:5] offset:728
	global_load_dwordx4 v[8:11], v0, s[4:5] offset:744
	;; [unrolled: 1-line block ×6, first 2 shown]
	ds_read2_b64 v[0:3], v51 offset0:13 offset1:26
	ds_read2_b64 v[28:31], v51 offset0:39 offset1:52
	;; [unrolled: 1-line block ×6, first 2 shown]
	s_waitcnt lgkmcnt(5)
	v_mov_b32_e32 v52, v3
	s_waitcnt lgkmcnt(4)
	v_mov_b32_e32 v54, v30
	;; [unrolled: 2-line block ×3, first 2 shown]
	v_mov_b32_e32 v56, v31
	s_waitcnt lgkmcnt(1)
	v_mov_b32_e32 v58, v42
	v_mov_b32_e32 v59, v35
	;; [unrolled: 1-line block ×5, first 2 shown]
	s_mov_b32 s4, 0x3f955555
	s_waitcnt vmcnt(5)
	v_pk_mul_f32 v[62:63], v[32:33], v[6:7]
	s_waitcnt vmcnt(4)
	v_mul_f32_e32 v53, v41, v10
	s_waitcnt vmcnt(3) lgkmcnt(0)
	v_pk_mul_f32 v[66:67], v[44:45], v[12:13]
	s_waitcnt vmcnt(2)
	v_pk_mul_f32 v[68:69], v[16:17], v[2:3] op_sel_hi:[1,0]
	v_mul_f32_e32 v78, v19, v31
	s_waitcnt vmcnt(1)
	v_mul_f32_e32 v31, v20, v35
	v_mov_b32_e32 v72, v19
	v_mov_b32_e32 v73, v23
	;; [unrolled: 1-line block ×3, first 2 shown]
	s_waitcnt vmcnt(0)
	v_mov_b32_e32 v20, v25
	v_pk_mul_f32 v[76:77], v[46:47], v[26:27] op_sel_hi:[1,0]
	v_mov_b32_e32 v26, v27
	v_mul_f32_e32 v35, v21, v34
	v_mov_b32_e32 v70, v18
	v_mov_b32_e32 v71, v22
	v_mul_f32_e32 v39, v22, v39
	v_mul_f32_e32 v23, v23, v38
	;; [unrolled: 1-line block ×3, first 2 shown]
	v_mov_b32_e32 v74, v24
	v_mov_b32_e32 v22, v27
	;; [unrolled: 1-line block ×4, first 2 shown]
	v_pk_fma_f32 v[66:67], v[16:17], v[52:53], v[68:69] op_sel:[0,0,1] op_sel_hi:[1,1,0]
	v_pk_fma_f32 v[2:3], v[16:17], v[2:3], v[68:69] op_sel:[0,1,1] op_sel_hi:[1,1,0] neg_lo:[1,0,0] neg_hi:[1,0,0]
	v_pk_mul_f32 v[16:17], v[72:73], v[54:55]
	v_pk_mul_f32 v[20:21], v[20:21], v[58:59]
	v_pk_fma_f32 v[26:27], v[46:47], v[26:27], v[76:77] op_sel:[0,0,1] op_sel_hi:[1,0,0] neg_lo:[1,0,0] neg_hi:[1,0,0]
	v_fma_f32 v30, v18, v30, -v78
	v_fma_f32 v34, v24, v42, -v34
	v_pk_fma_f32 v[42:43], v[46:47], v[22:23], v[76:77] op_sel:[0,0,1] op_sel_hi:[1,1,0]
	v_pk_fma_f32 v[46:47], v[32:33], v[6:7], v[38:39] neg_lo:[0,0,1] neg_hi:[0,0,1]
	v_pk_fma_f32 v[18:19], v[18:19], v[56:57], v[16:17]
	v_pk_fma_f32 v[16:17], v[70:71], v[56:57], v[16:17] neg_lo:[0,0,1] neg_hi:[0,0,1]
	v_pk_fma_f32 v[24:25], v[24:25], v[60:61], v[20:21]
	v_pk_fma_f32 v[20:21], v[74:75], v[60:61], v[20:21] neg_lo:[0,0,1] neg_hi:[0,0,1]
	v_mov_b32_e32 v38, v3
	v_mov_b32_e32 v22, v27
	;; [unrolled: 1-line block ×6, first 2 shown]
	v_pk_add_f32 v[2:3], v[38:39], v[22:23]
	v_pk_add_f32 v[22:23], v[30:31], v[34:35]
	v_pk_add_f32 v[56:57], v[66:67], v[42:43]
	v_pk_add_f32 v[42:43], v[66:67], v[42:43] neg_lo:[0,1] neg_hi:[0,1]
	v_pk_add_f32 v[58:59], v[18:19], v[24:25]
	v_pk_add_f32 v[18:19], v[18:19], v[24:25] neg_lo:[0,1] neg_hi:[0,1]
	v_mov_b32_e32 v24, v3
	v_mov_b32_e32 v25, v30
	v_mov_b32_e32 v26, v23
	v_mov_b32_e32 v27, v34
	v_pk_add_f32 v[24:25], v[24:25], v[26:27] neg_lo:[0,1] neg_hi:[0,1]
	v_mov_b32_e32 v26, v42
	v_mov_b32_e32 v27, v19
	;; [unrolled: 1-line block ×6, first 2 shown]
	v_pk_add_f32 v[26:27], v[26:27], v[24:25] neg_lo:[0,1] neg_hi:[0,1]
	v_mov_b32_e32 v34, v24
	v_pk_add_f32 v[38:39], v[18:19], v[24:25]
	v_pk_add_f32 v[60:61], v[22:23], v[2:3]
	;; [unrolled: 1-line block ×3, first 2 shown]
	v_pk_mul_f32 v[72:73], v[28:29], v[4:5] op_sel_hi:[1,0]
	v_mov_b32_e32 v24, v5
	v_pk_fma_f32 v[54:55], v[44:45], v[12:13], v[62:63] neg_lo:[0,0,1] neg_hi:[0,0,1]
	v_mov_b32_e32 v20, v16
	v_mov_b32_e32 v23, v61
	;; [unrolled: 1-line block ×4, first 2 shown]
	ds_read_b64 v[66:67], v133
	v_pk_add_f32 v[16:17], v[60:61], v[16:17]
	ds_read_b64 v[60:61], v51 offset:1352
	v_pk_fma_f32 v[74:75], v[28:29], v[24:25], v[72:73] op_sel:[0,0,1] op_sel_hi:[1,1,0]
	v_pk_fma_f32 v[4:5], v[28:29], v[4:5], v[72:73] op_sel:[0,1,1] op_sel_hi:[1,1,0] neg_lo:[1,0,0] neg_hi:[1,0,0]
	v_mov_b32_e32 v28, v33
	v_mov_b32_e32 v73, v10
	;; [unrolled: 1-line block ×4, first 2 shown]
	v_mul_f32_e32 v65, v40, v11
	v_mov_b32_e32 v29, v40
	v_mov_b32_e32 v72, v6
	v_pk_mul_f32 v[10:11], v[32:33], v[10:11]
	v_mul_f32_e32 v47, v37, v8
	v_pk_fma_f32 v[6:7], v[28:29], v[6:7], v[10:11]
	v_pk_fma_f32 v[10:11], v[28:29], v[72:73], v[10:11] neg_lo:[0,0,1] neg_hi:[0,0,1]
	v_mov_b32_e32 v28, v45
	v_mov_b32_e32 v33, v8
	;; [unrolled: 1-line block ×4, first 2 shown]
	v_mul_f32_e32 v64, v36, v9
	v_mov_b32_e32 v35, v43
	v_mov_b32_e32 v21, v56
	;; [unrolled: 1-line block ×4, first 2 shown]
	v_pk_mul_f32 v[8:9], v[44:45], v[8:9]
	v_pk_add_f32 v[34:35], v[34:35], v[18:19] neg_lo:[0,1] neg_hi:[0,1]
	v_pk_add_f32 v[20:21], v[20:21], v[22:23] neg_lo:[0,1] neg_hi:[0,1]
	v_mov_b32_e32 v63, v58
	v_pk_fma_f32 v[12:13], v[28:29], v[12:13], v[8:9]
	v_pk_fma_f32 v[8:9], v[28:29], v[32:33], v[8:9] neg_lo:[0,0,1] neg_hi:[0,0,1]
	v_pk_mul_f32 v[34:35], v[34:35], s[10:11]
	v_pk_add_f32 v[62:63], v[2:3], v[62:63] neg_lo:[0,1] neg_hi:[0,1]
	s_waitcnt lgkmcnt(1)
	v_pk_add_f32 v[66:67], v[16:17], v[66:67]
	v_pk_mul_f32 v[20:21], v[20:21], s[8:9]
	s_waitcnt lgkmcnt(0)
	v_pk_mul_f32 v[28:29], v[60:61], v[14:15] op_sel_hi:[1,0]
	v_mov_b32_e32 v4, v15
	v_mov_b32_e32 v8, v15
	v_pk_mul_f32 v[30:31], v[26:27], s[2:3]
	v_pk_add_f32 v[38:39], v[38:39], v[42:43]
	v_pk_mul_f32 v[68:69], v[62:63], s[6:7]
	v_pk_fma_f32 v[16:17], v[16:17], s[4:5], v[66:67] op_sel_hi:[1,0,1] neg_lo:[1,0,0] neg_hi:[1,0,0]
	v_pk_fma_f32 v[62:63], v[62:63], s[6:7], v[20:21]
	v_pk_fma_f32 v[26:27], v[26:27], s[2:3], v[34:35]
	v_pk_fma_f32 v[14:15], v[60:61], v[4:5], v[28:29] op_sel:[0,0,1] op_sel_hi:[1,1,0]
	v_pk_fma_f32 v[28:29], v[60:61], v[8:9], v[28:29] op_sel:[0,0,1] op_sel_hi:[1,0,0] neg_lo:[1,0,0] neg_hi:[1,0,0]
	v_pk_add_f32 v[62:63], v[62:63], v[16:17]
	v_pk_fma_f32 v[26:27], v[38:39], s[0:1], v[26:27] op_sel_hi:[1,0,1]
	v_mov_b32_e32 v55, v64
	v_mov_b32_e32 v52, v5
	;; [unrolled: 1-line block ×3, first 2 shown]
	v_pk_add_f32 v[70:71], v[62:63], v[26:27]
	v_pk_add_f32 v[26:27], v[62:63], v[26:27] neg_lo:[0,1] neg_hi:[0,1]
	v_pk_add_f32 v[62:63], v[46:47], v[54:55]
	v_mov_b32_e32 v75, v5
	v_mov_b32_e32 v7, v11
	v_mov_b32_e32 v13, v9
	v_pk_add_f32 v[4:5], v[52:53], v[64:65]
	v_mov_b32_e32 v15, v29
	v_pk_add_f32 v[36:37], v[6:7], v[12:13]
	v_pk_add_f32 v[6:7], v[6:7], v[12:13] neg_lo:[0,1] neg_hi:[0,1]
	v_mov_b32_e32 v12, v5
	v_mov_b32_e32 v13, v46
	v_mov_b32_e32 v28, v63
	v_mov_b32_e32 v29, v54
	v_pk_add_f32 v[32:33], v[74:75], v[14:15]
	v_pk_add_f32 v[14:15], v[74:75], v[14:15] neg_lo:[0,1] neg_hi:[0,1]
	v_pk_add_f32 v[12:13], v[12:13], v[28:29] neg_lo:[0,1] neg_hi:[0,1]
	v_mov_b32_e32 v45, v15
	v_mov_b32_e32 v44, v12
	v_pk_add_f32 v[44:45], v[44:45], v[6:7] neg_lo:[0,1] neg_hi:[0,1]
	v_mov_b32_e32 v19, v25
	v_mov_b32_e32 v23, v58
	;; [unrolled: 1-line block ×3, first 2 shown]
	v_pk_mul_f32 v[44:45], v[44:45], s[10:11]
	v_pk_add_f32 v[18:19], v[18:19], v[42:43] neg_lo:[0,1] neg_hi:[0,1]
	s_mov_b32 s10, 0x3f5ff5aa
	v_pk_add_f32 v[2:3], v[22:23], v[2:3] neg_lo:[0,1] neg_hi:[0,1]
	v_mov_b32_e32 v22, v68
	v_mov_b32_e32 v23, v21
	;; [unrolled: 1-line block ×6, first 2 shown]
	v_pk_fma_f32 v[22:23], v[2:3], s[12:13], v[22:23] op_sel_hi:[1,0,1] neg_lo:[1,0,1] neg_hi:[1,0,1]
	v_pk_fma_f32 v[24:25], v[18:19], s[10:11], v[24:25] op_sel_hi:[1,0,1] neg_lo:[1,0,1] neg_hi:[1,0,1]
	;; [unrolled: 1-line block ×4, first 2 shown]
	v_pk_add_f32 v[22:23], v[22:23], v[16:17]
	v_pk_add_f32 v[2:3], v[2:3], v[16:17]
	v_pk_fma_f32 v[16:17], v[38:39], s[0:1], v[18:19] op_sel_hi:[1,0,1]
	v_mov_b32_e32 v8, v9
	v_pk_add_f32 v[18:19], v[2:3], v[16:17] neg_lo:[0,1] neg_hi:[0,1]
	v_pk_add_f32 v[2:3], v[2:3], v[16:17]
	v_mov_b32_e32 v9, v36
	v_mov_b32_e32 v10, v11
	;; [unrolled: 1-line block ×6, first 2 shown]
	v_pk_add_f32 v[18:19], v[62:63], v[4:5]
	v_pk_add_f32 v[8:9], v[8:9], v[10:11]
	v_mov_b32_e32 v63, v19
	v_mov_b32_e32 v10, v8
	v_mov_b32_e32 v28, v14
	v_mov_b32_e32 v29, v7
	v_pk_add_f32 v[10:11], v[10:11], v[62:63] neg_lo:[0,1] neg_hi:[0,1]
	v_mov_b32_e32 v5, v19
	v_mov_b32_e32 v20, v8
	;; [unrolled: 1-line block ×3, first 2 shown]
	v_pk_add_f32 v[8:9], v[18:19], v[8:9]
	v_pk_add_f32 v[28:29], v[28:29], v[12:13] neg_lo:[0,1] neg_hi:[0,1]
	v_pk_add_f32 v[46:47], v[6:7], v[12:13]
	v_pk_add_f32 v[20:21], v[4:5], v[20:21] neg_lo:[0,1] neg_hi:[0,1]
	v_pk_add_f32 v[0:1], v[8:9], v[0:1]
	v_pk_mul_f32 v[10:11], v[10:11], s[8:9]
	v_pk_mul_f32 v[40:41], v[28:29], s[2:3]
	v_pk_add_f32 v[46:47], v[46:47], v[14:15]
	v_pk_mul_f32 v[18:19], v[20:21], s[6:7]
	v_pk_fma_f32 v[8:9], v[8:9], s[4:5], v[0:1] op_sel_hi:[1,0,1] neg_lo:[1,0,0] neg_hi:[1,0,0]
	v_pk_fma_f32 v[20:21], v[20:21], s[6:7], v[10:11]
	v_pk_fma_f32 v[28:29], v[28:29], s[2:3], v[44:45]
	v_pk_add_f32 v[20:21], v[20:21], v[8:9]
	v_pk_fma_f32 v[28:29], v[46:47], s[0:1], v[28:29] op_sel_hi:[1,0,1]
	s_nop 0
	v_pk_add_f32 v[30:31], v[20:21], v[28:29]
	v_pk_add_f32 v[20:21], v[20:21], v[28:29] neg_lo:[0,1] neg_hi:[0,1]
	; wave barrier
	v_mov_b32_e32 v52, v70
	v_mov_b32_e32 v53, v27
	ds_write2_b64 v51, v[66:67], v[0:1] offset1:13
	v_mov_b32_e32 v0, v30
	v_mov_b32_e32 v1, v21
	;; [unrolled: 1-line block ×5, first 2 shown]
	ds_write2_b64 v51, v[52:53], v[0:1] offset0:26 offset1:39
	v_pk_add_f32 v[0:1], v[6:7], v[14:15] neg_lo:[0,1] neg_hi:[0,1]
	v_pk_add_f32 v[4:5], v[62:63], v[4:5] neg_lo:[0,1] neg_hi:[0,1]
	v_mov_b32_e32 v6, v18
	v_mov_b32_e32 v7, v11
	;; [unrolled: 1-line block ×6, first 2 shown]
	v_pk_fma_f32 v[6:7], v[4:5], s[12:13], v[6:7] op_sel_hi:[1,0,1] neg_lo:[1,0,1] neg_hi:[1,0,1]
	v_pk_fma_f32 v[12:13], v[0:1], s[10:11], v[12:13] op_sel_hi:[1,0,1] neg_lo:[1,0,1] neg_hi:[1,0,1]
	;; [unrolled: 1-line block ×4, first 2 shown]
	v_pk_fma_f32 v[24:25], v[38:39], s[0:1], v[24:25] op_sel_hi:[1,0,1]
	v_pk_add_f32 v[6:7], v[6:7], v[8:9]
	v_pk_fma_f32 v[12:13], v[46:47], s[0:1], v[12:13] op_sel_hi:[1,0,1]
	v_pk_add_f32 v[4:5], v[4:5], v[8:9]
	;; [unrolled: 2-line block ×3, first 2 shown]
	v_pk_add_f32 v[22:23], v[22:23], v[24:25] neg_lo:[0,1] neg_hi:[0,1]
	v_pk_add_f32 v[14:15], v[6:7], v[12:13]
	v_pk_add_f32 v[6:7], v[6:7], v[12:13] neg_lo:[0,1] neg_hi:[0,1]
	v_pk_add_f32 v[8:9], v[4:5], v[0:1] neg_lo:[0,1] neg_hi:[0,1]
	v_pk_add_f32 v[0:1], v[4:5], v[0:1]
	v_mov_b32_e32 v24, v42
	v_mov_b32_e32 v25, v23
	;; [unrolled: 1-line block ×11, first 2 shown]
	ds_write2_b64 v51, v[24:25], v[12:13] offset0:52 offset1:65
	ds_write2_b64 v51, v[16:17], v[4:5] offset0:78 offset1:91
	ds_write2_b64 v51, v[2:3], v[0:1] offset0:104 offset1:117
	ds_write2_b64 v51, v[22:23], v[6:7] offset0:130 offset1:143
	ds_write2_b64 v51, v[26:27], v[20:21] offset0:156 offset1:169
	s_waitcnt lgkmcnt(0)
	; wave barrier
	s_waitcnt lgkmcnt(0)
	s_and_saveexec_b64 s[0:1], vcc
	s_cbranch_execz .LBB0_21
; %bb.20:
	v_lshl_add_u32 v8, v50, 3, v132
	ds_read2_b64 v[0:3], v8 offset1:13
	v_mov_b32_e32 v51, 0
	v_add_u32_e32 v4, 13, v50
	v_lshl_add_u64 v[6:7], v[50:51], 3, v[48:49]
	v_mov_b32_e32 v5, v51
	s_waitcnt lgkmcnt(0)
	global_store_dwordx2 v[6:7], v[0:1], off
	v_lshl_add_u64 v[0:1], v[4:5], 3, v[48:49]
	ds_read2_b64 v[4:7], v8 offset0:26 offset1:39
	global_store_dwordx2 v[0:1], v[2:3], off
	v_add_u32_e32 v0, 26, v50
	v_mov_b32_e32 v1, v51
	v_lshl_add_u64 v[0:1], v[0:1], 3, v[48:49]
	s_waitcnt lgkmcnt(0)
	global_store_dwordx2 v[0:1], v[4:5], off
	v_add_u32_e32 v0, 39, v50
	v_mov_b32_e32 v1, v51
	v_lshl_add_u64 v[4:5], v[0:1], 3, v[48:49]
	ds_read2_b64 v[0:3], v8 offset0:52 offset1:65
	global_store_dwordx2 v[4:5], v[6:7], off
	v_add_u32_e32 v4, 52, v50
	v_mov_b32_e32 v5, v51
	v_lshl_add_u64 v[4:5], v[4:5], 3, v[48:49]
	s_waitcnt lgkmcnt(0)
	global_store_dwordx2 v[4:5], v[0:1], off
	ds_read2_b64 v[4:7], v8 offset0:78 offset1:91
	v_add_u32_e32 v0, 0x41, v50
	v_mov_b32_e32 v1, v51
	v_lshl_add_u64 v[0:1], v[0:1], 3, v[48:49]
	global_store_dwordx2 v[0:1], v[2:3], off
	v_add_u32_e32 v0, 0x4e, v50
	v_mov_b32_e32 v1, v51
	v_lshl_add_u64 v[0:1], v[0:1], 3, v[48:49]
	s_waitcnt lgkmcnt(0)
	global_store_dwordx2 v[0:1], v[4:5], off
	v_add_u32_e32 v0, 0x5b, v50
	v_mov_b32_e32 v1, v51
	v_lshl_add_u64 v[4:5], v[0:1], 3, v[48:49]
	ds_read2_b64 v[0:3], v8 offset0:104 offset1:117
	global_store_dwordx2 v[4:5], v[6:7], off
	v_add_u32_e32 v4, 0x68, v50
	v_mov_b32_e32 v5, v51
	v_lshl_add_u64 v[4:5], v[4:5], 3, v[48:49]
	s_waitcnt lgkmcnt(0)
	global_store_dwordx2 v[4:5], v[0:1], off
	ds_read2_b64 v[4:7], v8 offset0:130 offset1:143
	v_add_u32_e32 v0, 0x75, v50
	v_mov_b32_e32 v1, v51
	v_lshl_add_u64 v[0:1], v[0:1], 3, v[48:49]
	global_store_dwordx2 v[0:1], v[2:3], off
	v_add_u32_e32 v0, 0x82, v50
	v_mov_b32_e32 v1, v51
	v_lshl_add_u64 v[0:1], v[0:1], 3, v[48:49]
	s_waitcnt lgkmcnt(0)
	global_store_dwordx2 v[0:1], v[4:5], off
	v_add_u32_e32 v0, 0x8f, v50
	v_mov_b32_e32 v1, v51
	v_lshl_add_u64 v[4:5], v[0:1], 3, v[48:49]
	ds_read2_b64 v[0:3], v8 offset0:156 offset1:169
	global_store_dwordx2 v[4:5], v[6:7], off
	v_add_u32_e32 v4, 0x9c, v50
	v_mov_b32_e32 v5, v51
	v_lshl_add_u64 v[4:5], v[4:5], 3, v[48:49]
	v_add_u32_e32 v50, 0xa9, v50
	s_waitcnt lgkmcnt(0)
	global_store_dwordx2 v[4:5], v[0:1], off
	v_lshl_add_u64 v[0:1], v[50:51], 3, v[48:49]
	global_store_dwordx2 v[0:1], v[2:3], off
.LBB0_21:
	s_endpgm
	.section	.rodata,"a",@progbits
	.p2align	6, 0x0
	.amdhsa_kernel fft_rtc_fwd_len182_factors_13_2_7_wgs_52_tpt_13_sp_ip_CI_unitstride_sbrr_C2R_dirReg
		.amdhsa_group_segment_fixed_size 0
		.amdhsa_private_segment_fixed_size 0
		.amdhsa_kernarg_size 88
		.amdhsa_user_sgpr_count 2
		.amdhsa_user_sgpr_dispatch_ptr 0
		.amdhsa_user_sgpr_queue_ptr 0
		.amdhsa_user_sgpr_kernarg_segment_ptr 1
		.amdhsa_user_sgpr_dispatch_id 0
		.amdhsa_user_sgpr_kernarg_preload_length 0
		.amdhsa_user_sgpr_kernarg_preload_offset 0
		.amdhsa_user_sgpr_private_segment_size 0
		.amdhsa_uses_dynamic_stack 0
		.amdhsa_enable_private_segment 0
		.amdhsa_system_sgpr_workgroup_id_x 1
		.amdhsa_system_sgpr_workgroup_id_y 0
		.amdhsa_system_sgpr_workgroup_id_z 0
		.amdhsa_system_sgpr_workgroup_info 0
		.amdhsa_system_vgpr_workitem_id 0
		.amdhsa_next_free_vgpr 198
		.amdhsa_next_free_sgpr 56
		.amdhsa_accum_offset 200
		.amdhsa_reserve_vcc 1
		.amdhsa_float_round_mode_32 0
		.amdhsa_float_round_mode_16_64 0
		.amdhsa_float_denorm_mode_32 3
		.amdhsa_float_denorm_mode_16_64 3
		.amdhsa_dx10_clamp 1
		.amdhsa_ieee_mode 1
		.amdhsa_fp16_overflow 0
		.amdhsa_tg_split 0
		.amdhsa_exception_fp_ieee_invalid_op 0
		.amdhsa_exception_fp_denorm_src 0
		.amdhsa_exception_fp_ieee_div_zero 0
		.amdhsa_exception_fp_ieee_overflow 0
		.amdhsa_exception_fp_ieee_underflow 0
		.amdhsa_exception_fp_ieee_inexact 0
		.amdhsa_exception_int_div_zero 0
	.end_amdhsa_kernel
	.text
.Lfunc_end0:
	.size	fft_rtc_fwd_len182_factors_13_2_7_wgs_52_tpt_13_sp_ip_CI_unitstride_sbrr_C2R_dirReg, .Lfunc_end0-fft_rtc_fwd_len182_factors_13_2_7_wgs_52_tpt_13_sp_ip_CI_unitstride_sbrr_C2R_dirReg
                                        ; -- End function
	.section	.AMDGPU.csdata,"",@progbits
; Kernel info:
; codeLenInByte = 10724
; NumSgprs: 62
; NumVgprs: 198
; NumAgprs: 0
; TotalNumVgprs: 198
; ScratchSize: 0
; MemoryBound: 0
; FloatMode: 240
; IeeeMode: 1
; LDSByteSize: 0 bytes/workgroup (compile time only)
; SGPRBlocks: 7
; VGPRBlocks: 24
; NumSGPRsForWavesPerEU: 62
; NumVGPRsForWavesPerEU: 198
; AccumOffset: 200
; Occupancy: 2
; WaveLimiterHint : 1
; COMPUTE_PGM_RSRC2:SCRATCH_EN: 0
; COMPUTE_PGM_RSRC2:USER_SGPR: 2
; COMPUTE_PGM_RSRC2:TRAP_HANDLER: 0
; COMPUTE_PGM_RSRC2:TGID_X_EN: 1
; COMPUTE_PGM_RSRC2:TGID_Y_EN: 0
; COMPUTE_PGM_RSRC2:TGID_Z_EN: 0
; COMPUTE_PGM_RSRC2:TIDIG_COMP_CNT: 0
; COMPUTE_PGM_RSRC3_GFX90A:ACCUM_OFFSET: 49
; COMPUTE_PGM_RSRC3_GFX90A:TG_SPLIT: 0
	.text
	.p2alignl 6, 3212836864
	.fill 256, 4, 3212836864
	.type	__hip_cuid_74f659f8990a71c0,@object ; @__hip_cuid_74f659f8990a71c0
	.section	.bss,"aw",@nobits
	.globl	__hip_cuid_74f659f8990a71c0
__hip_cuid_74f659f8990a71c0:
	.byte	0                               ; 0x0
	.size	__hip_cuid_74f659f8990a71c0, 1

	.ident	"AMD clang version 19.0.0git (https://github.com/RadeonOpenCompute/llvm-project roc-6.4.0 25133 c7fe45cf4b819c5991fe208aaa96edf142730f1d)"
	.section	".note.GNU-stack","",@progbits
	.addrsig
	.addrsig_sym __hip_cuid_74f659f8990a71c0
	.amdgpu_metadata
---
amdhsa.kernels:
  - .agpr_count:     0
    .args:
      - .actual_access:  read_only
        .address_space:  global
        .offset:         0
        .size:           8
        .value_kind:     global_buffer
      - .offset:         8
        .size:           8
        .value_kind:     by_value
      - .actual_access:  read_only
        .address_space:  global
        .offset:         16
        .size:           8
        .value_kind:     global_buffer
      - .actual_access:  read_only
        .address_space:  global
        .offset:         24
        .size:           8
        .value_kind:     global_buffer
      - .offset:         32
        .size:           8
        .value_kind:     by_value
      - .actual_access:  read_only
        .address_space:  global
        .offset:         40
        .size:           8
        .value_kind:     global_buffer
      - .actual_access:  read_only
        .address_space:  global
        .offset:         48
        .size:           8
        .value_kind:     global_buffer
      - .offset:         56
        .size:           4
        .value_kind:     by_value
      - .actual_access:  read_only
        .address_space:  global
        .offset:         64
        .size:           8
        .value_kind:     global_buffer
      - .actual_access:  read_only
        .address_space:  global
        .offset:         72
        .size:           8
        .value_kind:     global_buffer
      - .address_space:  global
        .offset:         80
        .size:           8
        .value_kind:     global_buffer
    .group_segment_fixed_size: 0
    .kernarg_segment_align: 8
    .kernarg_segment_size: 88
    .language:       OpenCL C
    .language_version:
      - 2
      - 0
    .max_flat_workgroup_size: 52
    .name:           fft_rtc_fwd_len182_factors_13_2_7_wgs_52_tpt_13_sp_ip_CI_unitstride_sbrr_C2R_dirReg
    .private_segment_fixed_size: 0
    .sgpr_count:     62
    .sgpr_spill_count: 0
    .symbol:         fft_rtc_fwd_len182_factors_13_2_7_wgs_52_tpt_13_sp_ip_CI_unitstride_sbrr_C2R_dirReg.kd
    .uniform_work_group_size: 1
    .uses_dynamic_stack: false
    .vgpr_count:     198
    .vgpr_spill_count: 0
    .wavefront_size: 64
amdhsa.target:   amdgcn-amd-amdhsa--gfx950
amdhsa.version:
  - 1
  - 2
...

	.end_amdgpu_metadata
